;; amdgpu-corpus repo=ROCm/rocFFT kind=compiled arch=gfx1201 opt=O3
	.text
	.amdgcn_target "amdgcn-amd-amdhsa--gfx1201"
	.amdhsa_code_object_version 6
	.protected	bluestein_single_fwd_len10752_dim1_half_op_CI_CI ; -- Begin function bluestein_single_fwd_len10752_dim1_half_op_CI_CI
	.globl	bluestein_single_fwd_len10752_dim1_half_op_CI_CI
	.p2align	8
	.type	bluestein_single_fwd_len10752_dim1_half_op_CI_CI,@function
bluestein_single_fwd_len10752_dim1_half_op_CI_CI: ; @bluestein_single_fwd_len10752_dim1_half_op_CI_CI
; %bb.0:
	s_load_b128 s[12:15], s[0:1], 0x28
	s_mov_b32 s2, ttmp9
	s_mov_b32 s3, 0
	s_mov_b32 s5, exec_lo
	s_wait_kmcnt 0x0
	v_cmpx_lt_u64_e64 s[2:3], s[12:13]
	s_cbranch_execz .LBB0_33
; %bb.1:
	s_load_b128 s[4:7], s[0:1], 0x18
	v_dual_mov_b32 v34, s3 :: v_dual_mov_b32 v33, s2
	v_or_b32_e32 v21, 0xa00, v0
	v_mov_b32_e32 v22, 0
	s_wait_kmcnt 0x0
	s_load_b128 s[8:11], s[4:5], 0x0
	s_load_b64 s[12:13], s[0:1], 0x0
	s_wait_kmcnt 0x0
	v_mad_co_u64_u32 v[1:2], null, s10, v33, 0
	v_mad_co_u64_u32 v[3:4], null, s8, v0, 0
	s_mul_u64 s[2:3], s[8:9], 0xa80
	s_delay_alu instid0(VALU_DEP_1)
	v_mad_co_u64_u32 v[5:6], null, s11, v33, v[2:3]
	v_lshlrev_b32_e32 v73, 2, v0
	s_wait_alu 0xfffe
	s_lshl_b64 s[10:11], s[2:3], 2
	s_movk_i32 s2, 0xe280
	s_mov_b32 s3, -1
	s_wait_alu 0xfffe
	s_mul_u64 s[2:3], s[8:9], s[2:3]
	v_mov_b32_e32 v2, v5
	v_mad_co_u64_u32 v[6:7], null, s9, v0, v[4:5]
	s_clause 0x6
	global_load_b32 v101, v73, s[12:13] offset:12800
	global_load_b32 v93, v73, s[12:13] offset:14848
	global_load_b32 v111, v73, s[12:13]
	global_load_b32 v103, v73, s[12:13] offset:2048
	global_load_b32 v95, v73, s[12:13] offset:4096
	global_load_b32 v87, v73, s[12:13] offset:6144
	global_load_b32 v85, v73, s[12:13] offset:16896
	v_lshlrev_b64_e32 v[1:2], 2, v[1:2]
	s_clause 0xb
	global_load_b32 v99, v73, s[12:13] offset:23552
	global_load_b32 v91, v73, s[12:13] offset:25600
	;; [unrolled: 1-line block ×12, first 2 shown]
	v_mov_b32_e32 v4, v6
	s_wait_alu 0xfffe
	s_lshl_b64 s[2:3], s[2:3], 2
	v_add_co_u32 v1, vcc_lo, s14, v1
	v_add_co_ci_u32_e32 v2, vcc_lo, s15, v2, vcc_lo
	v_lshlrev_b64_e32 v[3:4], 2, v[3:4]
	s_load_b64 s[8:9], s[0:1], 0x38
	v_add_co_u32 v31, s14, s12, v73
	s_wait_alu 0xf1ff
	v_add_co_ci_u32_e64 v32, null, s13, 0, s14
	s_delay_alu instid0(VALU_DEP_3) | instskip(SKIP_2) | instid1(VALU_DEP_2)
	v_add_co_u32 v1, vcc_lo, v1, v3
	s_wait_alu 0xfffd
	v_add_co_ci_u32_e32 v2, vcc_lo, v2, v4, vcc_lo
	v_add_co_u32 v3, vcc_lo, v1, s10
	s_wait_alu 0xfffd
	s_delay_alu instid0(VALU_DEP_2)
	v_add_co_ci_u32_e32 v4, vcc_lo, s11, v2, vcc_lo
	global_load_b32 v5, v[1:2], off
	v_add_co_u32 v1, vcc_lo, v3, s10
	s_wait_alu 0xfffd
	v_add_co_ci_u32_e32 v2, vcc_lo, s11, v4, vcc_lo
	global_load_b32 v74, v73, s[12:13] offset:40448
	s_clause 0x1
	global_load_b32 v6, v[3:4], off
	global_load_b32 v7, v[1:2], off
	v_add_co_u32 v1, vcc_lo, v1, s10
	s_wait_alu 0xfffd
	v_add_co_ci_u32_e32 v2, vcc_lo, s11, v2, vcc_lo
	s_delay_alu instid0(VALU_DEP_2) | instskip(SKIP_1) | instid1(VALU_DEP_2)
	v_add_co_u32 v3, vcc_lo, v1, s2
	s_wait_alu 0xfffd
	v_add_co_ci_u32_e32 v4, vcc_lo, s3, v2, vcc_lo
	s_clause 0x1
	global_load_b32 v8, v[1:2], off
	global_load_b32 v9, v[3:4], off
	v_add_co_u32 v1, vcc_lo, v3, s10
	s_wait_alu 0xfffd
	v_add_co_ci_u32_e32 v2, vcc_lo, s11, v4, vcc_lo
	s_delay_alu instid0(VALU_DEP_2) | instskip(SKIP_1) | instid1(VALU_DEP_2)
	v_add_co_u32 v3, vcc_lo, v1, s10
	s_wait_alu 0xfffd
	v_add_co_ci_u32_e32 v4, vcc_lo, s11, v2, vcc_lo
	global_load_b32 v10, v[1:2], off
	global_load_b32 v11, v[3:4], off
	v_add_co_u32 v1, vcc_lo, v3, s10
	s_wait_alu 0xfffd
	v_add_co_ci_u32_e32 v2, vcc_lo, s11, v4, vcc_lo
	s_delay_alu instid0(VALU_DEP_2) | instskip(SKIP_1) | instid1(VALU_DEP_2)
	v_add_co_u32 v3, vcc_lo, v1, s2
	s_wait_alu 0xfffd
	v_add_co_ci_u32_e32 v4, vcc_lo, s3, v2, vcc_lo
	global_load_b32 v12, v[1:2], off
	global_load_b32 v13, v[3:4], off
	v_add_co_u32 v1, vcc_lo, v3, s10
	s_wait_alu 0xfffd
	v_add_co_ci_u32_e32 v2, vcc_lo, s11, v4, vcc_lo
	s_delay_alu instid0(VALU_DEP_2) | instskip(SKIP_1) | instid1(VALU_DEP_2)
	v_add_co_u32 v3, vcc_lo, v1, s10
	s_wait_alu 0xfffd
	v_add_co_ci_u32_e32 v4, vcc_lo, s11, v2, vcc_lo
	global_load_b32 v14, v[1:2], off
	v_add_co_u32 v1, vcc_lo, v3, s10
	s_wait_alu 0xfffd
	v_add_co_ci_u32_e32 v2, vcc_lo, s11, v4, vcc_lo
	global_load_b32 v15, v[3:4], off
	global_load_b32 v16, v[1:2], off
	v_add_co_u32 v1, vcc_lo, v1, s2
	s_wait_alu 0xfffd
	v_add_co_ci_u32_e32 v2, vcc_lo, s3, v2, vcc_lo
	s_delay_alu instid0(VALU_DEP_2) | instskip(SKIP_1) | instid1(VALU_DEP_2)
	v_add_co_u32 v3, vcc_lo, v1, s10
	s_wait_alu 0xfffd
	v_add_co_ci_u32_e32 v4, vcc_lo, s11, v2, vcc_lo
	global_load_b32 v17, v[1:2], off
	v_add_co_u32 v1, vcc_lo, v3, s10
	s_wait_alu 0xfffd
	v_add_co_ci_u32_e32 v2, vcc_lo, s11, v4, vcc_lo
	global_load_b32 v18, v[3:4], off
	global_load_b32 v19, v[1:2], off
	v_add_co_u32 v1, vcc_lo, v1, s10
	s_wait_alu 0xfffd
	v_add_co_ci_u32_e32 v2, vcc_lo, s11, v2, vcc_lo
	s_delay_alu instid0(VALU_DEP_2) | instskip(SKIP_1) | instid1(VALU_DEP_2)
	v_add_co_u32 v3, vcc_lo, v1, s2
	s_wait_alu 0xfffd
	v_add_co_ci_u32_e32 v4, vcc_lo, s3, v2, vcc_lo
	global_load_b32 v20, v[1:2], off
	v_add_co_u32 v1, vcc_lo, v3, s10
	s_wait_alu 0xfffd
	v_add_co_ci_u32_e32 v2, vcc_lo, s11, v4, vcc_lo
	global_load_b32 v23, v[3:4], off
	;; [unrolled: 4-line block ×4, first 2 shown]
	global_load_b32 v4, v[1:2], off
	s_load_b128 s[4:7], s[6:7], 0x0
	v_cmp_gt_u64_e32 vcc_lo, 0xa80, v[21:22]
	s_wait_loadcnt 0x25
	v_lshrrev_b32_e32 v113, 16, v111
	s_wait_loadcnt 0x24
	v_lshrrev_b32_e32 v105, 16, v103
	v_lshrrev_b32_e32 v104, 16, v101
	s_wait_loadcnt 0x1d
	v_lshrrev_b32_e32 v100, 16, v97
	;; [unrolled: 3-line block ×4, first 2 shown]
	v_lshrrev_b32_e32 v98, 16, v95
	v_lshrrev_b32_e32 v96, 16, v93
	;; [unrolled: 1-line block ×9, first 2 shown]
	s_wait_loadcnt 0x15
	v_lshrrev_b32_e32 v79, 16, v78
	v_lshrrev_b32_e32 v77, 16, v75
	s_wait_loadcnt 0x14
	v_lshrrev_b32_e32 v25, 16, v5
	v_mul_f16_e32 v26, v113, v5
	s_wait_loadcnt 0x13
	v_lshrrev_b32_e32 v76, 16, v74
	s_delay_alu instid0(VALU_DEP_3)
	v_mul_f16_e32 v27, v113, v25
	s_wait_loadcnt 0x12
	v_lshrrev_b32_e32 v28, 16, v6
	v_mul_f16_e32 v29, v112, v6
	v_fma_f16 v25, v111, v25, -v26
	s_wait_loadcnt 0x11
	v_lshrrev_b32_e32 v26, 16, v7
	v_fmac_f16_e32 v27, v111, v5
	v_mul_f16_e32 v5, v112, v28
	v_fma_f16 v28, v110, v28, -v29
	v_mul_f16_e32 v29, v109, v7
	s_delay_alu instid0(VALU_DEP_4) | instskip(NEXT) | instid1(VALU_DEP_4)
	v_pack_b32_f16 v25, v27, v25
	v_fmac_f16_e32 v5, v110, v6
	v_mul_f16_e32 v6, v109, v26
	s_wait_loadcnt 0x10
	v_lshrrev_b32_e32 v27, 16, v8
	v_fma_f16 v26, v108, v26, -v29
	v_mul_f16_e32 v29, v107, v8
	v_pack_b32_f16 v5, v5, v28
	v_fmac_f16_e32 v6, v108, v7
	v_mul_f16_e32 v7, v107, v27
	s_wait_loadcnt 0xf
	v_lshrrev_b32_e32 v28, 16, v9
	v_fma_f16 v27, v106, v27, -v29
	v_mul_f16_e32 v29, v105, v9
	v_pack_b32_f16 v6, v6, v26
	v_fmac_f16_e32 v7, v106, v8
	v_mul_f16_e32 v8, v105, v28
	s_delay_alu instid0(VALU_DEP_4)
	v_fma_f16 v28, v103, v28, -v29
	s_wait_loadcnt 0xe
	v_lshrrev_b32_e32 v26, 16, v10
	v_mul_f16_e32 v29, v104, v10
	v_pack_b32_f16 v7, v7, v27
	v_fmac_f16_e32 v8, v103, v9
	s_wait_loadcnt 0xd
	v_lshrrev_b32_e32 v27, 16, v11
	v_mul_f16_e32 v9, v104, v26
	v_mul_f16_e32 v30, v102, v11
	v_fma_f16 v26, v101, v26, -v29
	v_pack_b32_f16 v8, v8, v28
	s_delay_alu instid0(VALU_DEP_4)
	v_fmac_f16_e32 v9, v101, v10
	v_mul_f16_e32 v10, v102, v27
	s_wait_loadcnt 0xc
	v_lshrrev_b32_e32 v28, 16, v12
	v_fma_f16 v27, v99, v27, -v30
	v_mul_f16_e32 v29, v100, v12
	ds_store_2addr_stride64_b32 v73, v25, v8 offset1:8
	v_pack_b32_f16 v8, v9, v26
	v_fmac_f16_e32 v10, v99, v11
	v_mul_f16_e32 v9, v100, v28
	s_wait_loadcnt 0xb
	v_lshrrev_b32_e32 v11, 16, v13
	v_mul_f16_e32 v25, v98, v13
	v_fma_f16 v26, v97, v28, -v29
	v_pack_b32_f16 v10, v10, v27
	v_fmac_f16_e32 v9, v97, v12
	v_mul_f16_e32 v12, v98, v11
	v_fma_f16 v11, v95, v11, -v25
	s_wait_loadcnt 0xa
	v_lshrrev_b32_e32 v25, 16, v14
	v_mul_f16_e32 v27, v96, v14
	ds_store_2addr_stride64_b32 v73, v6, v10 offset0:84 offset1:92
	v_pack_b32_f16 v6, v9, v26
	v_fmac_f16_e32 v12, v95, v13
	v_mul_f16_e32 v9, v96, v25
	s_wait_loadcnt 0x9
	v_lshrrev_b32_e32 v10, 16, v15
	v_fma_f16 v13, v93, v25, -v27
	v_mul_f16_e32 v25, v94, v15
	v_pack_b32_f16 v11, v12, v11
	v_fmac_f16_e32 v9, v93, v14
	v_mul_f16_e32 v12, v94, v10
	s_wait_loadcnt 0x8
	v_lshrrev_b32_e32 v14, 16, v16
	v_mul_f16_e32 v26, v92, v16
	v_fma_f16 v10, v91, v10, -v25
	v_pack_b32_f16 v9, v9, v13
	v_fmac_f16_e32 v12, v91, v15
	v_mul_f16_e32 v13, v92, v14
	s_wait_loadcnt 0x7
	v_lshrrev_b32_e32 v15, 16, v17
	v_fma_f16 v14, v89, v14, -v26
	v_mul_f16_e32 v25, v90, v17
	ds_store_2addr_stride64_b32 v73, v8, v9 offset0:50 offset1:58
	v_pack_b32_f16 v8, v12, v10
	v_fmac_f16_e32 v13, v89, v16
	v_mul_f16_e32 v9, v90, v15
	s_wait_loadcnt 0x6
	v_lshrrev_b32_e32 v10, 16, v18
	v_mul_f16_e32 v12, v88, v18
	v_fma_f16 v15, v87, v15, -v25
	v_pack_b32_f16 v13, v13, v14
	v_fmac_f16_e32 v9, v87, v17
	v_mul_f16_e32 v14, v88, v10
	v_fma_f16 v10, v85, v10, -v12
	s_wait_loadcnt 0x5
	v_lshrrev_b32_e32 v12, 16, v19
	v_mul_f16_e32 v16, v86, v19
	ds_store_2addr_stride64_b32 v73, v6, v13 offset0:134 offset1:142
	v_pack_b32_f16 v6, v9, v15
	v_fmac_f16_e32 v14, v85, v18
	v_mul_f16_e32 v9, v86, v12
	s_wait_loadcnt 0x4
	v_lshrrev_b32_e32 v13, 16, v20
	v_mul_f16_e32 v15, v84, v20
	v_fma_f16 v12, v83, v12, -v16
	ds_store_2addr_stride64_b32 v73, v11, v6 offset0:16 offset1:24
	v_pack_b32_f16 v6, v14, v10
	v_fmac_f16_e32 v9, v83, v19
	s_wait_loadcnt 0x3
	v_lshrrev_b32_e32 v10, 16, v23
	v_mul_f16_e32 v14, v82, v23
	v_mul_f16_e32 v11, v84, v13
	v_fma_f16 v13, v81, v13, -v15
	s_wait_loadcnt 0x2
	v_lshrrev_b32_e32 v15, 16, v24
	v_pack_b32_f16 v9, v9, v12
	v_mul_f16_e32 v12, v82, v10
	v_fma_f16 v10, v80, v10, -v14
	v_mul_f16_e32 v14, v79, v24
	s_wait_loadcnt 0x1
	v_lshrrev_b32_e32 v16, 16, v3
	s_wait_loadcnt 0x0
	v_lshrrev_b32_e32 v18, 16, v4
	v_mul_f16_e32 v17, v79, v15
	v_fmac_f16_e32 v11, v81, v20
	v_fma_f16 v14, v78, v15, -v14
	v_mul_f16_e32 v15, v77, v3
	v_mul_f16_e32 v19, v77, v16
	v_fmac_f16_e32 v12, v80, v23
	v_mul_f16_e32 v20, v76, v4
	v_mul_f16_e32 v23, v76, v18
	v_fmac_f16_e32 v17, v78, v24
	v_fma_f16 v15, v75, v16, -v15
	v_fmac_f16_e32 v19, v75, v3
	v_fma_f16 v3, v74, v18, -v20
	v_fmac_f16_e32 v23, v74, v4
	v_pack_b32_f16 v10, v12, v10
	v_pack_b32_f16 v4, v11, v13
	;; [unrolled: 1-line block ×5, first 2 shown]
	ds_store_2addr_stride64_b32 v73, v8, v9 offset0:100 offset1:108
	ds_store_2addr_stride64_b32 v73, v10, v5 offset0:32 offset1:42
	ds_store_2addr_stride64_b32 v73, v6, v11 offset0:66 offset1:74
	ds_store_2addr_stride64_b32 v73, v12, v7 offset0:116 offset1:126
	ds_store_2addr_stride64_b32 v73, v4, v3 offset0:150 offset1:158
	s_and_saveexec_b32 s14, vcc_lo
	s_cbranch_execz .LBB0_3
; %bb.2:
	v_add_co_u32 v1, s2, v1, s2
	s_wait_alu 0xf1ff
	v_add_co_ci_u32_e64 v2, s2, s3, v2, s2
	global_load_b32 v8, v[31:32], off offset:10240
	global_load_b32 v7, v[1:2], off
	v_add_co_u32 v1, s2, v1, s10
	s_wait_alu 0xf1ff
	v_add_co_ci_u32_e64 v2, s2, s11, v2, s2
	s_clause 0x2
	global_load_b32 v9, v[31:32], off offset:20992
	global_load_b32 v10, v[31:32], off offset:31744
	;; [unrolled: 1-line block ×3, first 2 shown]
	v_add_co_u32 v3, s2, v1, s10
	s_wait_alu 0xf1ff
	v_add_co_ci_u32_e64 v4, s2, s11, v2, s2
	s_delay_alu instid0(VALU_DEP_2) | instskip(SKIP_1) | instid1(VALU_DEP_2)
	v_add_co_u32 v5, s2, v3, s10
	s_wait_alu 0xf1ff
	v_add_co_ci_u32_e64 v6, s2, s11, v4, s2
	global_load_b32 v1, v[1:2], off
	global_load_b32 v2, v[3:4], off
	;; [unrolled: 1-line block ×3, first 2 shown]
	s_wait_loadcnt 0x7
	v_lshrrev_b32_e32 v4, 16, v8
	s_wait_loadcnt 0x6
	v_lshrrev_b32_e32 v5, 16, v7
	s_delay_alu instid0(VALU_DEP_2)
	v_mul_f16_e32 v6, v4, v7
	s_wait_loadcnt 0x5
	v_lshrrev_b32_e32 v12, 16, v9
	s_wait_loadcnt 0x4
	v_lshrrev_b32_e32 v13, 16, v10
	v_mul_f16_e32 v4, v4, v5
	s_wait_loadcnt 0x3
	v_lshrrev_b32_e32 v14, 16, v11
	v_fma_f16 v5, v8, v5, -v6
	s_delay_alu instid0(VALU_DEP_3)
	v_fmac_f16_e32 v4, v8, v7
	s_wait_loadcnt 0x2
	v_lshrrev_b32_e32 v6, 16, v1
	v_mul_f16_e32 v15, v12, v1
	s_wait_loadcnt 0x1
	v_lshrrev_b32_e32 v7, 16, v2
	s_wait_loadcnt 0x0
	v_lshrrev_b32_e32 v8, 16, v3
	v_mul_f16_e32 v12, v12, v6
	v_fma_f16 v6, v9, v6, -v15
	v_mul_f16_e32 v15, v13, v2
	v_mul_f16_e32 v13, v13, v7
	;; [unrolled: 1-line block ×4, first 2 shown]
	v_fmac_f16_e32 v12, v9, v1
	v_fma_f16 v1, v10, v7, -v15
	v_fmac_f16_e32 v13, v10, v2
	v_fmac_f16_e32 v16, v11, v3
	v_fma_f16 v2, v11, v8, -v14
	v_pack_b32_f16 v3, v4, v5
	v_pack_b32_f16 v4, v12, v6
	;; [unrolled: 1-line block ×3, first 2 shown]
	s_delay_alu instid0(VALU_DEP_4)
	v_pack_b32_f16 v2, v16, v2
	ds_store_2addr_stride64_b32 v73, v3, v4 offset0:40 offset1:82
	ds_store_2addr_stride64_b32 v73, v1, v2 offset0:124 offset1:166
.LBB0_3:
	s_wait_alu 0xfffe
	s_or_b32 exec_lo, exec_lo, s14
	global_wb scope:SCOPE_SE
	s_wait_dscnt 0x0
	s_wait_kmcnt 0x0
	s_barrier_signal -1
	s_barrier_wait -1
	global_inv scope:SCOPE_SE
	ds_load_2addr_stride64_b32 v[8:9], v73 offset1:8
	ds_load_2addr_stride64_b32 v[10:11], v73 offset0:32 offset1:42
	ds_load_2addr_stride64_b32 v[27:28], v73 offset0:84 offset1:92
	ds_load_2addr_stride64_b32 v[16:17], v73 offset0:116 offset1:126
	ds_load_2addr_stride64_b32 v[6:7], v73 offset0:50 offset1:58
	ds_load_2addr_stride64_b32 v[25:26], v73 offset0:134 offset1:142
	ds_load_2addr_stride64_b32 v[1:2], v73 offset0:16 offset1:24
	ds_load_2addr_stride64_b32 v[23:24], v73 offset0:100 offset1:108
	ds_load_2addr_stride64_b32 v[4:5], v73 offset0:66 offset1:74
	ds_load_2addr_stride64_b32 v[18:19], v73 offset0:150 offset1:158
                                        ; implicit-def: $vgpr12
                                        ; implicit-def: $vgpr14
	s_and_saveexec_b32 s2, vcc_lo
	s_cbranch_execz .LBB0_5
; %bb.4:
	ds_load_2addr_stride64_b32 v[12:13], v73 offset0:40 offset1:82
	ds_load_2addr_stride64_b32 v[14:15], v73 offset0:124 offset1:166
.LBB0_5:
	s_wait_alu 0xfffe
	s_or_b32 exec_lo, exec_lo, s2
	s_wait_dscnt 0x7
	v_pk_add_f16 v27, v8, v27 neg_lo:[0,1] neg_hi:[0,1]
	s_wait_dscnt 0x6
	v_pk_add_f16 v20, v11, v17 neg_lo:[0,1] neg_hi:[0,1]
	;; [unrolled: 2-line block ×4, first 2 shown]
	v_pk_add_f16 v40, v9, v28 neg_lo:[0,1] neg_hi:[0,1]
	v_lshrrev_b32_e32 v17, 16, v27
	v_lshrrev_b32_e32 v3, 16, v20
	v_pk_add_f16 v26, v7, v26 neg_lo:[0,1] neg_hi:[0,1]
	v_pk_add_f16 v16, v10, v16 neg_lo:[0,1] neg_hi:[0,1]
	v_lshrrev_b32_e32 v28, 16, v40
	v_add_f16_e32 v42, v17, v20
	v_sub_f16_e32 v41, v27, v3
	v_lshrrev_b32_e32 v3, 16, v25
	s_wait_dscnt 0x0
	v_pk_add_f16 v18, v4, v18 neg_lo:[0,1] neg_hi:[0,1]
	v_pk_add_f16 v48, v2, v24 neg_lo:[0,1] neg_hi:[0,1]
	v_fma_f16 v45, v17, 2.0, -v42
	v_lshrrev_b32_e32 v17, 16, v23
	v_sub_f16_e32 v44, v40, v3
	v_lshrrev_b32_e32 v3, 16, v26
	v_pk_fma_f16 v58, v10, 2.0, v16 op_sel_hi:[1,0,1] neg_lo:[0,0,1] neg_hi:[0,0,1]
	v_pk_add_f16 v10, v12, v14 neg_lo:[0,1] neg_hi:[0,1]
	v_add_f16_e32 v51, v17, v26
	v_pk_add_f16 v14, v13, v15 neg_lo:[0,1] neg_hi:[0,1]
	v_add_f16_e32 v46, v28, v25
	v_sub_f16_e32 v49, v23, v3
	v_lshrrev_b32_e32 v3, 16, v18
	v_lshrrev_b32_e32 v24, 16, v48
	v_pk_add_f16 v19, v5, v19 neg_lo:[0,1] neg_hi:[0,1]
	v_fma_f16 v57, v17, 2.0, -v51
	v_lshrrev_b32_e32 v17, 16, v16
	v_pk_fma_f16 v12, v12, 2.0, v10 op_sel_hi:[1,0,1] neg_lo:[0,0,1] neg_hi:[0,0,1]
	v_pk_fma_f16 v13, v13, 2.0, v14 op_sel_hi:[1,0,1] neg_lo:[0,0,1] neg_hi:[0,0,1]
	v_fma_f16 v50, v28, 2.0, -v46
	v_sub_f16_e32 v53, v48, v3
	v_add_f16_e32 v54, v24, v18
	v_pk_fma_f16 v3, v5, 2.0, v19 op_sel_hi:[1,0,1] neg_lo:[0,0,1] neg_hi:[0,0,1]
	v_lshrrev_b32_e32 v15, 16, v19
	v_lshrrev_b32_e32 v28, 16, v14
	v_add_f16_e32 v36, v17, v19
	v_pk_add_f16 v19, v12, v13 neg_lo:[0,1] neg_hi:[0,1]
	v_fma_f16 v59, v24, 2.0, -v54
	v_sub_f16_e32 v24, v16, v15
	v_lshrrev_b32_e32 v15, 16, v10
	v_sub_f16_e32 v29, v10, v28
	v_fma_f16 v38, v17, 2.0, -v36
	v_pk_fma_f16 v17, v12, 2.0, v19 op_sel_hi:[1,0,1] neg_lo:[0,0,1] neg_hi:[0,0,1]
	v_pk_fma_f16 v12, v9, 2.0, v40 op_sel_hi:[1,0,1] neg_lo:[0,0,1] neg_hi:[0,0,1]
	;; [unrolled: 1-line block ×3, first 2 shown]
	v_add_f16_e32 v37, v14, v15
	v_fma_f16 v30, v10, 2.0, -v29
	v_pk_fma_f16 v8, v8, 2.0, v27 op_sel_hi:[1,0,1] neg_lo:[0,0,1] neg_hi:[0,0,1]
	v_pk_fma_f16 v10, v11, 2.0, v20 op_sel_hi:[1,0,1] neg_lo:[0,0,1] neg_hi:[0,0,1]
	v_pk_add_f16 v14, v12, v6 neg_lo:[0,1] neg_hi:[0,1]
	v_pk_fma_f16 v1, v1, 2.0, v23 op_sel_hi:[1,0,1] neg_lo:[0,0,1] neg_hi:[0,0,1]
	v_pk_fma_f16 v6, v7, 2.0, v26 op_sel_hi:[1,0,1] neg_lo:[0,0,1] neg_hi:[0,0,1]
	;; [unrolled: 1-line block ×4, first 2 shown]
	v_or_b32_e32 v34, 0x200, v0
	v_or_b32_e32 v22, 0x400, v0
	;; [unrolled: 1-line block ×4, first 2 shown]
	v_fma_f16 v43, v27, 2.0, -v41
	v_pk_add_f16 v3, v58, v3 neg_lo:[0,1] neg_hi:[0,1]
	v_pk_add_f16 v10, v8, v10 neg_lo:[0,1] neg_hi:[0,1]
	v_pack_b32_f16 v11, v41, v42
	v_pk_add_f16 v42, v1, v6 neg_lo:[0,1] neg_hi:[0,1]
	v_fma_f16 v47, v40, 2.0, -v44
	v_fma_f16 v52, v23, 2.0, -v49
	;; [unrolled: 1-line block ×4, first 2 shown]
	v_pack_b32_f16 v15, v44, v46
	v_pk_add_f16 v46, v2, v4 neg_lo:[0,1] neg_hi:[0,1]
	v_fma_f16 v28, v16, 2.0, -v24
	v_dual_mov_b32 v35, 0 :: v_dual_lshlrev_b32 v118, 4, v0
	v_pk_fma_f16 v8, v8, 2.0, v10 op_sel_hi:[1,0,1] neg_lo:[0,0,1] neg_hi:[0,0,1]
	v_pack_b32_f16 v9, v43, v45
	v_lshlrev_b32_e32 v122, 4, v34
	v_lshlrev_b32_e32 v126, 4, v22
	v_pk_fma_f16 v40, v1, 2.0, v42 op_sel_hi:[1,0,1] neg_lo:[0,0,1] neg_hi:[0,0,1]
	v_lshlrev_b32_e32 v128, 4, v56
	v_lshlrev_b32_e32 v130, 4, v55
	v_pk_fma_f16 v1, v58, 2.0, v3 op_sel_hi:[1,0,1] neg_lo:[0,0,1] neg_hi:[0,0,1]
	v_lshlrev_b32_e32 v127, 4, v21
	v_pk_fma_f16 v12, v12, 2.0, v14 op_sel_hi:[1,0,1] neg_lo:[0,0,1] neg_hi:[0,0,1]
	v_pack_b32_f16 v13, v47, v50
	v_pack_b32_f16 v43, v49, v51
	v_pack_b32_f16 v41, v52, v57
	v_pk_fma_f16 v44, v2, 2.0, v46 op_sel_hi:[1,0,1] neg_lo:[0,0,1] neg_hi:[0,0,1]
	v_pack_b32_f16 v47, v53, v54
	v_pack_b32_f16 v45, v5, v59
	;; [unrolled: 1-line block ×4, first 2 shown]
	global_wb scope:SCOPE_SE
	s_barrier_signal -1
	s_barrier_wait -1
	global_inv scope:SCOPE_SE
	ds_store_b128 v118, v[8:11]
	ds_store_b128 v122, v[12:15]
	;; [unrolled: 1-line block ×5, first 2 shown]
	s_and_saveexec_b32 s2, vcc_lo
	s_cbranch_execz .LBB0_7
; %bb.6:
	v_perm_b32 v20, v37, v29, 0x5040100
	v_perm_b32 v18, v39, v30, 0x5040100
	ds_store_b128 v127, v[17:20]
.LBB0_7:
	s_wait_alu 0xfffe
	s_or_b32 exec_lo, exec_lo, s2
	global_wb scope:SCOPE_SE
	s_wait_dscnt 0x0
	s_barrier_signal -1
	s_barrier_wait -1
	global_inv scope:SCOPE_SE
	ds_load_b32 v52, v73 offset:2688
	ds_load_b32 v51, v73 offset:5376
	;; [unrolled: 1-line block ×14, first 2 shown]
	ds_load_b32 v2, v73
	ds_load_b32 v20, v73 offset:40320
	s_load_b64 s[10:11], s[0:1], 0x8
	v_cmp_gt_u64_e64 s0, 0x2a0, v[34:35]
	v_lshrrev_b32_e32 v4, 16, v1
                                        ; implicit-def: $vgpr53
                                        ; implicit-def: $vgpr63
                                        ; implicit-def: $vgpr54
                                        ; implicit-def: $vgpr64
                                        ; implicit-def: $vgpr57
                                        ; implicit-def: $vgpr65
                                        ; implicit-def: $vgpr58
                                        ; implicit-def: $vgpr66
                                        ; implicit-def: $vgpr59
                                        ; implicit-def: $vgpr67
                                        ; implicit-def: $vgpr60
                                        ; implicit-def: $vgpr68
                                        ; implicit-def: $vgpr61
                                        ; implicit-def: $vgpr69
                                        ; implicit-def: $vgpr62
                                        ; implicit-def: $vgpr70
	s_delay_alu instid0(VALU_DEP_2)
	s_and_saveexec_b32 s1, s0
	s_cbranch_execz .LBB0_9
; %bb.8:
	ds_load_b32 v1, v73 offset:2048
	ds_load_b32 v28, v73 offset:4736
	;; [unrolled: 1-line block ×16, first 2 shown]
	s_wait_dscnt 0xf
	v_lshrrev_b32_e32 v4, 16, v1
	s_wait_dscnt 0xe
	v_lshrrev_b32_e32 v38, 16, v28
	;; [unrolled: 2-line block ×13, first 2 shown]
.LBB0_9:
	s_or_b32 exec_lo, exec_lo, s1
	v_dual_mov_b32 v23, v35 :: v_dual_and_b32 v114, 3, v0
	s_wait_dscnt 0xc
	v_lshrrev_b32_e32 v137, 16, v49
	s_wait_dscnt 0xb
	v_lshrrev_b32_e32 v138, 16, v48
	;; [unrolled: 2-line block ×3, first 2 shown]
	s_wait_kmcnt 0x0
	v_mad_co_u64_u32 v[25:26], null, v114, 60, s[10:11]
	s_wait_dscnt 0x9
	v_lshrrev_b32_e32 v140, 16, v46
	s_wait_dscnt 0x4
	v_lshrrev_b32_e32 v145, 16, v41
	;; [unrolled: 2-line block ×5, first 2 shown]
	v_lshrrev_b32_e32 v71, 16, v52
	s_clause 0x3
	global_load_b128 v[13:16], v[25:26], off
	global_load_b128 v[9:12], v[25:26], off offset:16
	global_load_b128 v[5:8], v[25:26], off offset:32
	global_load_b96 v[25:27], v[25:26], off offset:48
	v_lshrrev_b32_e32 v72, 16, v51
	v_lshrrev_b32_e32 v115, 16, v50
	;; [unrolled: 1-line block ×10, first 2 shown]
	global_wb scope:SCOPE_SE
	s_wait_loadcnt 0x0
	s_barrier_signal -1
	s_barrier_wait -1
	global_inv scope:SCOPE_SE
	v_lshrrev_b32_e32 v136, 16, v13
	v_lshrrev_b32_e32 v135, 16, v14
	v_lshrrev_b32_e32 v134, 16, v15
	v_lshrrev_b32_e32 v133, 16, v16
	v_lshrrev_b32_e32 v132, 16, v9
	v_lshrrev_b32_e32 v131, 16, v10
	v_lshrrev_b32_e32 v129, 16, v11
	v_lshrrev_b32_e32 v125, 16, v12
	v_lshrrev_b32_e32 v124, 16, v5
	v_lshrrev_b32_e32 v123, 16, v6
	v_lshrrev_b32_e32 v121, 16, v7
	v_lshrrev_b32_e32 v120, 16, v8
	v_lshrrev_b32_e32 v119, 16, v25
	v_lshrrev_b32_e32 v117, 16, v26
	v_lshrrev_b32_e32 v116, 16, v27
	v_mul_f16_e64 v153, v52, v136
	v_mul_f16_e64 v155, v51, v135
	;; [unrolled: 1-line block ×43, first 2 shown]
	v_fmac_f16_e64 v153, v71, v13
	v_fmac_f16_e64 v155, v72, v14
	;; [unrolled: 1-line block ×3, first 2 shown]
	v_fma_f16 v49, v49, v16, -v160
	v_fma_f16 v48, v48, v9, -v164
	;; [unrolled: 1-line block ×4, first 2 shown]
	v_fmac_f16_e64 v171, v141, v12
	v_fmac_f16_e64 v173, v142, v5
	;; [unrolled: 1-line block ×4, first 2 shown]
	v_fma_f16 v41, v41, v8, -v178
	v_fma_f16 v40, v40, v25, -v180
	;; [unrolled: 1-line block ×4, first 2 shown]
	v_mul_f16_e64 v162, v17, v133
	v_mul_f16_e64 v163, v19, v131
	;; [unrolled: 1-line block ×15, first 2 shown]
	v_fma_f16 v17, v17, v16, -v158
	v_fma_f16 v19, v19, v10, -v159
	;; [unrolled: 1-line block ×5, first 2 shown]
	v_fmac_f16_e64 v161, v137, v16
	v_fmac_f16_e64 v165, v138, v9
	;; [unrolled: 1-line block ×4, first 2 shown]
	v_fma_f16 v45, v45, v12, -v170
	v_fma_f16 v44, v44, v5, -v172
	;; [unrolled: 1-line block ×4, first 2 shown]
	v_fmac_f16_e64 v179, v145, v8
	v_fmac_f16_e64 v181, v146, v25
	;; [unrolled: 1-line block ×8, first 2 shown]
	v_fma_f16 v37, v61, v5, -v198
	v_fmac_f16_e64 v201, v68, v6
	v_fma_f16 v39, v59, v7, -v202
	v_fma_f16 v58, v58, v8, -v204
	v_fmac_f16_e64 v207, v65, v25
	v_fma_f16 v54, v54, v26, -v208
	v_fmac_f16_e64 v211, v63, v27
	v_sub_f16_e64 v59, v35, v171
	v_sub_f16_e32 v41, v49, v41
	v_sub_f16_e64 v61, v155, v175
	v_sub_f16_e32 v18, v47, v18
	;; [unrolled: 2-line block ×4, first 2 shown]
	v_mul_f16_e64 v186, v38, v136
	v_mul_f16_e64 v190, v36, v134
	v_fmac_f16_e64 v187, v38, v13
	v_fmac_f16_e64 v191, v36, v15
	v_fmac_f16_e64 v162, v150, v16
	v_fmac_f16_e64 v163, v151, v10
	v_fma_f16 v36, v62, v12, -v196
	v_fmac_f16_e64 v199, v69, v5
	v_fma_f16 v3, v3, v14, -v188
	v_fma_f16 v38, v60, v6, -v200
	v_fmac_f16_e64 v203, v67, v7
	v_fmac_f16_e64 v205, v66, v8
	;; [unrolled: 1-line block ×3, first 2 shown]
	v_sub_f16_e32 v45, v2, v45
	v_sub_f16_e64 v60, v161, v179
	v_sub_f16_e32 v43, v51, v43
	v_sub_f16_e64 v62, v167, v183
	;; [unrolled: 2-line block ×4, first 2 shown]
	v_sub_f16_e64 v67, v4, v197
	v_sub_f16_e32 v58, v17, v58
	v_sub_f16_e64 v69, v189, v201
	v_sub_f16_e32 v54, v19, v54
	v_fma_f16 v49, v49, 2.0, -v41
	v_fma_f16 v47, v47, 2.0, -v18
	;; [unrolled: 1-line block ×4, first 2 shown]
	v_add_f16_e32 v41, v59, v41
	v_add_f16_e32 v18, v61, v18
	;; [unrolled: 1-line block ×4, first 2 shown]
	v_sub_f16_e32 v36, v1, v36
	v_sub_f16_e64 v68, v162, v205
	v_sub_f16_e32 v38, v3, v38
	v_sub_f16_e64 v70, v163, v209
	v_sub_f16_e64 v71, v187, v199
	;; [unrolled: 1-line block ×3, first 2 shown]
	v_fma_f16 v2, v2, 2.0, -v45
	v_fma_f16 v35, v35, 2.0, -v59
	;; [unrolled: 1-line block ×11, first 2 shown]
	v_sub_f16_e32 v60, v45, v60
	v_sub_f16_e32 v62, v43, v62
	;; [unrolled: 1-line block ×4, first 2 shown]
	v_fma_f16 v17, v17, 2.0, -v58
	v_fma_f16 v19, v19, 2.0, -v54
	v_add_f16_e32 v58, v67, v58
	v_add_f16_e32 v54, v69, v54
	v_fma_f16 v59, v59, 2.0, -v41
	v_fma_f16 v61, v61, 2.0, -v18
	;; [unrolled: 1-line block ×4, first 2 shown]
	v_fma_f16 v153, 0x39a8, v18, v41
	v_fma_f16 v52, v52, 2.0, -v44
	v_fma_f16 v4, v4, 2.0, -v67
	;; [unrolled: 1-line block ×8, first 2 shown]
	v_sub_f16_e32 v68, v36, v68
	v_sub_f16_e32 v70, v38, v70
	;; [unrolled: 1-line block ×3, first 2 shown]
	v_sub_f16_e64 v138, v35, v138
	v_sub_f16_e32 v47, v51, v47
	v_sub_f16_e64 v140, v139, v140
	v_fma_f16 v43, v43, 2.0, -v62
	v_sub_f16_e64 v142, v141, v142
	v_fma_f16 v44, v44, 2.0, -v64
	v_sub_f16_e32 v46, v50, v46
	v_fma_f16 v42, v42, 2.0, -v66
	v_fma_f16 v152, 0x39a8, v62, v60
	v_fma_f16 v67, v67, 2.0, -v58
	v_fma_f16 v69, v69, 2.0, -v54
	v_fma_f16 v157, 0xb9a8, v61, v59
	v_fmac_f16_e64 v153, 0x39a8, v62
	v_fmamk_f16 v62, v65, 0xb9a8, v63
	v_fma_f16 v28, v28, v13, -v186
	v_fma_f16 v24, v24, v15, -v190
	;; [unrolled: 1-line block ×6, first 2 shown]
	v_fma_f16 v1, v1, 2.0, -v36
	v_sub_f16_e32 v48, v52, v48
	v_sub_f16_e64 v144, v143, v144
	v_fma_f16 v155, 0x39a8, v20, v40
	v_sub_f16_e64 v145, v4, v145
	v_fma_f16 v36, v36, 2.0, -v68
	v_sub_f16_e32 v19, v3, v19
	v_fma_f16 v38, v38, 2.0, -v70
	v_sub_f16_e64 v149, v148, v149
	v_fma_f16 v2, v2, 2.0, -v49
	v_fma_f16 v35, v35, 2.0, -v138
	;; [unrolled: 1-line block ×5, first 2 shown]
	v_add_f16_e64 v47, v138, v47
	v_fmac_f16_e64 v152, 0xb9a8, v18
	v_fmamk_f16 v18, v42, 0xb9a8, v44
	v_add_f16_e64 v46, v142, v46
	v_fma_f16 v167, 0xb9a8, v69, v67
	v_fmac_f16_e64 v157, 0x39a8, v43
	v_fmac_f16_e32 v62, 0x39a8, v42
	v_sub_f16_e32 v37, v28, v37
	v_sub_f16_e32 v57, v30, v57
	;; [unrolled: 1-line block ×4, first 2 shown]
	v_sub_f16_e64 v137, v195, v211
	v_fma_f16 v45, v45, 2.0, -v60
	v_fma_f16 v154, 0x39a8, v66, v64
	v_fma_f16 v143, v143, 2.0, -v144
	v_sub_f16_e64 v140, v49, v140
	v_sub_f16_e64 v144, v48, v144
	v_fmac_f16_e64 v155, 0x39a8, v66
	v_fma_f16 v3, v3, 2.0, -v19
	v_fma_f16 v66, v148, 2.0, -v149
	v_fma_f16 v148, 0xb9a8, v38, v36
	v_add_f16_e64 v168, v145, v19
	v_sub_f16_e32 v19, v2, v51
	v_sub_f16_e64 v51, v35, v139
	v_fmac_f16_e32 v18, 0xb9a8, v65
	v_fma_f16 v139, 0x39a8, v46, v47
	v_fmac_f16_e64 v167, 0x39a8, v38
	v_fma_f16 v38, v59, 2.0, -v157
	v_fma_f16 v59, v63, 2.0, -v62
	v_sub_f16_e64 v115, v191, v203
	v_fma_f16 v28, v28, 2.0, -v37
	v_fma_f16 v30, v30, 2.0, -v57
	;; [unrolled: 1-line block ×5, first 2 shown]
	v_sub_f16_e32 v72, v37, v72
	v_sub_f16_e64 v137, v39, v137
	v_fma_f16 v156, 0xb9a8, v43, v45
	v_fma_f16 v43, v49, 2.0, -v140
	v_fma_f16 v49, v138, 2.0, -v47
	;; [unrolled: 1-line block ×3, first 2 shown]
	v_fma_f16 v138, 0x39a8, v144, v140
	v_fma_f16 v44, v44, 2.0, -v18
	v_fmac_f16_e64 v139, 0x39a8, v144
	v_fma_f16 v144, 0xbb64, v59, v38
	v_add_f16_e32 v53, v115, v53
	v_sub_f16_e64 v147, v146, v147
	v_sub_f16_e32 v30, v28, v30
	v_fma_f16 v37, v37, 2.0, -v72
	v_sub_f16_e32 v29, v24, v29
	v_fma_f16 v39, v39, 2.0, -v137
	v_fma_f16 v164, 0x39a8, v70, v68
	v_fma_f16 v141, v141, 2.0, -v142
	v_fmac_f16_e64 v154, 0xb9a8, v20
	v_fma_f16 v41, v41, 2.0, -v153
	v_fma_f16 v40, v40, 2.0, -v155
	v_fmac_f16_e64 v144, 0x361f, v44
	v_fma_f16 v150, v191, 2.0, -v115
	v_sub_f16_e32 v17, v1, v17
	v_fma_f16 v115, v115, 2.0, -v53
	v_fma_f16 v166, 0x39a8, v54, v58
	v_fma_f16 v52, v52, 2.0, -v48
	v_fma_f16 v4, v4, 2.0, -v145
	v_fma_f16 v20, v146, 2.0, -v147
	v_fma_f16 v28, v28, 2.0, -v30
	v_fma_f16 v24, v24, 2.0, -v29
	v_fmac_f16_e64 v164, 0xb9a8, v54
	v_fmac_f16_e64 v156, 0xb9a8, v61
	v_fma_f16 v54, v60, 2.0, -v152
	v_sub_f16_e64 v60, v141, v143
	v_fma_f16 v61, v64, 2.0, -v154
	v_fma_f16 v171, 0xb61f, v40, v41
	v_fma_f16 v178, v38, 2.0, -v144
	v_fmamk_f16 v38, v39, 0xb9a8, v37
	v_add_f16_e32 v57, v71, v57
	v_sub_f16_e64 v151, v150, v151
	v_sub_f16_e64 v147, v17, v147
	v_sub_f16_e32 v50, v52, v50
	v_sub_f16_e32 v64, v4, v20
	v_fma_f16 v20, v35, 2.0, -v51
	v_fma_f16 v35, v45, 2.0, -v156
	v_fma_f16 v170, 0xb61f, v61, v54
	v_sub_f16_e64 v172, v19, v60
	v_fmac_f16_e64 v171, 0x3b64, v61
	v_sub_f16_e32 v61, v28, v24
	v_fmac_f16_e32 v38, 0xb9a8, v115
	v_fma_f16 v71, v71, 2.0, -v57
	v_fma_f16 v1, v1, 2.0, -v17
	v_fma_f16 v146, v150, 2.0, -v151
	v_fma_f16 v48, v142, 2.0, -v46
	v_fma_f16 v2, v2, 2.0, -v19
	v_fma_f16 v45, v52, 2.0, -v50
	v_fma_f16 v52, v141, 2.0, -v60
	v_fma_f16 v173, 0x361f, v18, v156
	v_fmac_f16_e64 v138, 0xb9a8, v46
	v_fma_f16 v46, v67, 2.0, -v167
	v_fmamk_f16 v67, v44, 0xbb64, v35
	v_fmac_f16_e64 v170, 0xbb64, v40
	v_fma_f16 v40, v19, 2.0, -v172
	v_fma_f16 v19, v17, 2.0, -v147
	;; [unrolled: 1-line block ×4, first 2 shown]
	v_fma_f16 v37, 0x39a8, v137, v72
	v_sub_f16_e32 v3, v1, v3
	v_fmamk_f16 v63, v115, 0xb9a8, v71
	v_fmamk_f16 v65, v53, 0x39a8, v57
	v_fma_f16 v142, 0x3b64, v154, v152
	v_fma_f16 v174, 0x361f, v62, v157
	v_sub_f16_e32 v52, v20, v52
	v_fmac_f16_e64 v173, 0xbb64, v62
	v_fmac_f16_e32 v67, 0xb61f, v59
	v_sub_f16_e64 v62, v66, v146
	v_add_f16_e64 v29, v149, v29
	v_fmac_f16_e32 v37, 0xb9a8, v53
	v_fmac_f16_e64 v148, 0xb9a8, v69
	v_fma_f16 v169, 0xb9a8, v48, v49
	v_fma_f16 v1, v1, 2.0, -v3
	v_fmac_f16_e64 v166, 0x39a8, v70
	v_fmac_f16_e32 v63, 0x39a8, v39
	v_sub_f16_e64 v39, v30, v151
	v_fmac_f16_e64 v65, 0x39a8, v137
	v_fma_f16 v143, 0x3b64, v155, v153
	v_fmamk_f16 v69, v42, 0xb9a8, v43
	v_add_f16_e32 v50, v51, v50
	v_fmac_f16_e64 v142, 0xb61f, v155
	v_fmac_f16_e64 v174, 0x3b64, v18
	v_fma_f16 v175, v20, 2.0, -v52
	v_fma_f16 v177, v35, 2.0, -v67
	;; [unrolled: 1-line block ×8, first 2 shown]
	v_sub_f16_e32 v45, v2, v45
	v_fmac_f16_e64 v169, 0x39a8, v42
	v_fma_f16 v58, v58, 2.0, -v166
	v_fma_f16 v59, v71, 2.0, -v63
	v_fma_f16 v30, v30, 2.0, -v39
	v_sub_f16_e64 v150, v1, v17
	v_fma_f16 v57, v57, 2.0, -v65
	v_fmac_f16_e64 v143, 0x361f, v154
	v_fma_f16 v4, v4, 2.0, -v64
	v_fmac_f16_e32 v69, 0xb9a8, v48
	v_fma_f16 v42, v51, 2.0, -v50
	v_fma_f16 v51, v152, 2.0, -v142
	v_fma_f16 v158, 0xb9a8, v53, v20
	v_fma_f16 v152, 0xb61f, v66, v35
	v_fma_f16 v2, v2, 2.0, -v45
	v_fma_f16 v44, v49, 2.0, -v169
	;; [unrolled: 1-line block ×4, first 2 shown]
	v_fma_f16 v149, 0xbb64, v28, v36
	v_fma_f16 v17, v1, 2.0, -v150
	v_fma_f16 v156, 0xbb64, v59, v46
	v_fma_f16 v151, 0xb9a8, v30, v19
	;; [unrolled: 1-line block ×9, first 2 shown]
	v_and_or_b32 v1, 0x1fc0, v118, v114
	v_fma_f16 v48, v140, 2.0, -v138
	v_fma_f16 v140, v153, 2.0, -v143
	;; [unrolled: 1-line block ×5, first 2 shown]
	v_sub_f16_e64 v157, v4, v18
	v_fmac_f16_e64 v158, 0x39a8, v30
	v_fmac_f16_e64 v152, 0xbb64, v57
	v_sub_f16_e64 v153, v3, v62
	v_fma_f16 v47, v47, 2.0, -v139
	v_fmac_f16_e64 v149, 0xb61f, v59
	v_fmac_f16_e64 v156, 0x361f, v28
	;; [unrolled: 1-line block ×4, first 2 shown]
	v_add_f16_e64 v162, v64, v61
	v_fmac_f16_e64 v154, 0xbb64, v63
	v_fmac_f16_e64 v161, 0x3b64, v38
	v_fmac_f16_e64 v155, 0xb9a8, v29
	v_fmac_f16_e64 v163, 0x39a8, v39
	v_fmac_f16_e64 v159, 0xb61f, v65
	v_fmac_f16_e64 v165, 0x361f, v37
	v_lshlrev_b32_e32 v141, 2, v1
	v_pack_b32_f16 v1, v2, v175
	v_pack_b32_f16 v2, v177, v178
	v_fma_f16 v24, v4, 2.0, -v157
	v_fma_f16 v60, v20, 2.0, -v158
	;; [unrolled: 1-line block ×4, first 2 shown]
	v_pack_b32_f16 v3, v43, v44
	v_pack_b32_f16 v4, v49, v41
	;; [unrolled: 1-line block ×6, first 2 shown]
	v_fma_f16 v18, v36, 2.0, -v149
	v_fma_f16 v59, v46, 2.0, -v156
	;; [unrolled: 1-line block ×11, first 2 shown]
	ds_store_2addr_b32 v141, v1, v2 offset1:4
	ds_store_2addr_b32 v141, v3, v4 offset0:8 offset1:12
	ds_store_2addr_b32 v141, v28, v29 offset0:16 offset1:20
	ds_store_2addr_b32 v141, v30, v39 offset0:24 offset1:28
	v_pack_b32_f16 v1, v45, v52
	v_pack_b32_f16 v2, v67, v144
	v_lshlrev_b32_e32 v146, 4, v34
	v_pack_b32_f16 v3, v69, v169
	v_pack_b32_f16 v4, v170, v171
	;; [unrolled: 1-line block ×6, first 2 shown]
	ds_store_2addr_b32 v141, v1, v2 offset0:32 offset1:36
	ds_store_2addr_b32 v141, v3, v4 offset0:40 offset1:44
	;; [unrolled: 1-line block ×4, first 2 shown]
	s_and_saveexec_b32 s1, s0
	s_cbranch_execz .LBB0_11
; %bb.10:
	v_and_or_b32 v1, 0x3fc0, v146, v114
	v_perm_b32 v2, v24, v17, 0x5040100
	v_perm_b32 v3, v59, v18, 0x5040100
	;; [unrolled: 1-line block ×4, first 2 shown]
	v_lshlrev_b32_e32 v1, 2, v1
	v_perm_b32 v29, v62, v35, 0x5040100
	v_perm_b32 v30, v63, v36, 0x5040100
	;; [unrolled: 1-line block ×4, first 2 shown]
	ds_store_2addr_b32 v1, v2, v3 offset1:4
	ds_store_2addr_b32 v1, v4, v28 offset0:8 offset1:12
	ds_store_2addr_b32 v1, v29, v30 offset0:16 offset1:20
	v_perm_b32 v2, v64, v37, 0x5040100
	v_perm_b32 v3, v65, v38, 0x5040100
	;; [unrolled: 1-line block ×8, first 2 shown]
	ds_store_2addr_b32 v1, v2, v3 offset0:24 offset1:28
	ds_store_2addr_b32 v1, v4, v28 offset0:32 offset1:36
	;; [unrolled: 1-line block ×5, first 2 shown]
.LBB0_11:
	s_or_b32 exec_lo, exec_lo, s1
	global_wb scope:SCOPE_SE
	s_wait_dscnt 0x0
	s_barrier_signal -1
	s_barrier_wait -1
	global_inv scope:SCOPE_SE
	ds_load_2addr_stride64_b32 v[39:40], v73 offset1:8
	ds_load_2addr_stride64_b32 v[53:54], v73 offset0:21 offset1:29
	ds_load_2addr_stride64_b32 v[51:52], v73 offset0:42 offset1:50
	;; [unrolled: 1-line block ×7, first 2 shown]
	v_cmp_lt_u64_e64 s2, 0x53f, v[22:23]
	v_cmp_gt_u64_e64 s1, 0x540, v[22:23]
	s_delay_alu instid0(VALU_DEP_1)
	s_and_saveexec_b32 s3, s1
	s_cbranch_execz .LBB0_13
; %bb.12:
	ds_load_2addr_stride64_b32 v[17:18], v73 offset0:16 offset1:37
	ds_load_2addr_stride64_b32 v[19:20], v73 offset0:58 offset1:79
	;; [unrolled: 1-line block ×4, first 2 shown]
	s_wait_dscnt 0x3
	v_lshrrev_b32_e32 v24, 16, v17
	v_lshrrev_b32_e32 v59, 16, v18
	s_wait_dscnt 0x2
	v_lshrrev_b32_e32 v60, 16, v19
	v_lshrrev_b32_e32 v61, 16, v20
	;; [unrolled: 3-line block ×4, first 2 shown]
.LBB0_13:
	s_wait_alu 0xfffe
	s_or_b32 exec_lo, exec_lo, s3
	v_and_b32_e32 v115, 63, v0
	v_lshlrev_b32_e32 v58, 3, v0
	v_lshlrev_b32_e32 v57, 3, v34
	s_wait_dscnt 0x6
	v_lshrrev_b32_e32 v66, 16, v53
	s_wait_dscnt 0x5
	v_lshrrev_b32_e32 v67, 16, v51
	;; [unrolled: 2-line block ×3, first 2 shown]
	v_and_or_b32 v138, 0xe00, v58, v115
	v_mov_b32_e32 v58, 0
	v_mad_co_u64_u32 v[28:29], null, v115, 28, s[10:11]
	v_and_or_b32 v139, 0x1e00, v57, v115
	s_wait_dscnt 0x3
	v_lshrrev_b32_e32 v69, 16, v47
	s_wait_dscnt 0x2
	v_lshrrev_b32_e32 v70, 16, v45
	s_clause 0x1
	global_load_b128 v[1:4], v[28:29], off offset:240
	global_load_b96 v[28:30], v[28:29], off offset:256
	s_wait_dscnt 0x1
	v_lshrrev_b32_e32 v71, 16, v43
	s_wait_dscnt 0x0
	v_lshrrev_b32_e32 v72, 16, v41
	v_lshlrev_b32_e32 v148, 2, v138
	v_lshlrev_b32_e32 v147, 2, v139
	v_lshrrev_b32_e32 v166, 16, v54
	v_lshrrev_b32_e32 v167, 16, v52
	;; [unrolled: 1-line block ×7, first 2 shown]
	v_lshlrev_b32_e32 v137, 3, v22
	v_lshrrev_b32_e32 v23, 16, v39
	v_lshrrev_b32_e32 v164, 16, v40
	global_wb scope:SCOPE_SE
	s_wait_loadcnt 0x0
	s_barrier_signal -1
	s_barrier_wait -1
	global_inv scope:SCOPE_SE
	v_lshrrev_b32_e32 v142, 16, v1
	v_lshrrev_b32_e32 v138, 16, v2
	;; [unrolled: 1-line block ×7, first 2 shown]
	v_mul_f16_e64 v22, v66, v142
	v_mul_f16_e64 v172, v53, v142
	;; [unrolled: 1-line block ×42, first 2 shown]
	v_fma_f16 v22, v53, v1, -v22
	v_fmac_f16_e64 v172, v66, v1
	v_fma_f16 v51, v51, v2, -v173
	v_fmac_f16_e64 v174, v67, v2
	;; [unrolled: 2-line block ×21, first 2 shown]
	v_sub_f16_e32 v36, v39, v47
	v_sub_f16_e64 v37, v23, v178
	v_sub_f16_e32 v38, v51, v43
	v_sub_f16_e64 v43, v174, v182
	;; [unrolled: 2-line block ×12, first 2 shown]
	v_fma_f16 v166, v39, 2.0, -v36
	v_fma_f16 v167, v23, 2.0, -v37
	;; [unrolled: 1-line block ×8, first 2 shown]
	v_sub_f16_e64 v170, v36, v43
	v_add_f16_e64 v171, v37, v38
	v_sub_f16_e32 v60, v45, v60
	v_add_f16_e64 v172, v47, v41
	v_fma_f16 v173, v40, 2.0, -v48
	v_fma_f16 v164, v164, 2.0, -v61
	v_fma_f16 v40, v52, 2.0, -v44
	v_fma_f16 v41, v188, 2.0, -v62
	v_fma_f16 v52, v53, 2.0, -v63
	v_fma_f16 v53, v186, 2.0, -v64
	v_fma_f16 v43, v50, 2.0, -v34
	v_fma_f16 v50, v190, 2.0, -v42
	v_sub_f16_e32 v62, v48, v62
	v_add_f16_e64 v174, v61, v44
	v_sub_f16_e64 v175, v63, v42
	v_add_f16_e64 v176, v64, v34
	v_fma_f16 v19, v17, 2.0, -v65
	v_fma_f16 v18, v24, 2.0, -v66
	;; [unrolled: 1-line block ×8, first 2 shown]
	v_sub_f16_e32 v35, v65, v68
	v_add_f16_e32 v17, v66, v67
	v_sub_f16_e32 v38, v69, v72
	v_add_f16_e32 v39, v70, v71
	v_sub_f16_e64 v54, v166, v23
	v_sub_f16_e64 v59, v167, v51
	v_fma_f16 v67, v36, 2.0, -v170
	v_fma_f16 v68, v37, 2.0, -v171
	v_sub_f16_e64 v51, v168, v22
	v_sub_f16_e64 v49, v169, v49
	v_fma_f16 v45, v45, 2.0, -v60
	v_fma_f16 v47, v47, 2.0, -v172
	v_fma_f16 v72, 0x39a8, v172, v171
	v_sub_f16_e64 v177, v173, v40
	v_sub_f16_e64 v178, v164, v41
	v_fma_f16 v48, v48, 2.0, -v62
	v_fma_f16 v61, v61, 2.0, -v174
	v_sub_f16_e64 v179, v52, v43
	v_sub_f16_e32 v50, v53, v50
	v_fma_f16 v63, v63, 2.0, -v175
	v_fma_f16 v64, v64, 2.0, -v176
	v_fma_f16 v71, 0x39a8, v60, v170
	v_sub_f16_e32 v36, v18, v42
	v_fma_f16 v43, v65, 2.0, -v35
	v_fma_f16 v40, v66, 2.0, -v17
	v_sub_f16_e32 v42, v34, v44
	v_sub_f16_e32 v41, v20, v46
	v_fma_f16 v22, v69, 2.0, -v38
	v_fma_f16 v44, v70, 2.0, -v39
	;; [unrolled: 1-line block ×6, first 2 shown]
	v_fmamk_f16 v70, v45, 0xb9a8, v67
	v_fma_f16 v166, 0xb9a8, v47, v68
	v_fmac_f16_e32 v72, 0x39a8, v60
	v_fma_f16 v60, v173, 2.0, -v177
	v_fma_f16 v164, v164, 2.0, -v178
	;; [unrolled: 1-line block ×4, first 2 shown]
	v_fma_f16 v168, 0xb9a8, v63, v48
	v_fma_f16 v169, 0xb9a8, v64, v61
	;; [unrolled: 1-line block ×4, first 2 shown]
	v_fmac_f16_e64 v71, 0xb9a8, v172
	v_sub_f16_e64 v50, v177, v50
	v_add_f16_e64 v172, v178, v179
	v_sub_f16_e32 v66, v46, v66
	v_sub_f16_e32 v69, v65, v69
	v_fmac_f16_e32 v70, 0xb9a8, v47
	v_fmac_f16_e64 v166, 0x39a8, v45
	v_sub_f16_e32 v49, v54, v49
	v_add_f16_e64 v167, v59, v51
	v_sub_f16_e32 v52, v60, v52
	v_sub_f16_e64 v53, v164, v53
	v_fmac_f16_e64 v168, 0xb9a8, v64
	v_fmac_f16_e64 v169, 0x39a8, v63
	;; [unrolled: 1-line block ×4, first 2 shown]
	v_fma_f16 v63, v177, 2.0, -v50
	v_fma_f16 v64, v178, 2.0, -v172
	;; [unrolled: 1-line block ×14, first 2 shown]
	v_sub_f16_e32 v37, v19, v24
	v_fmamk_f16 v23, v38, 0x39a8, v35
	v_fmamk_f16 v24, v39, 0x39a8, v17
	;; [unrolled: 1-line block ×3, first 2 shown]
	v_fma_f16 v185, 0xb9a8, v44, v40
	v_fma_f16 v62, v62, 2.0, -v180
	v_fma_f16 v170, v174, 2.0, -v181
	v_pack_b32_f16 v63, v63, v64
	v_pack_b32_f16 v46, v46, v65
	;; [unrolled: 1-line block ×16, first 2 shown]
	ds_store_2addr_stride64_b32 v148, v46, v64 offset1:1
	ds_store_2addr_stride64_b32 v148, v45, v47 offset0:2 offset1:3
	ds_store_2addr_stride64_b32 v148, v54, v59 offset0:4 offset1:5
	;; [unrolled: 1-line block ×3, first 2 shown]
	ds_store_2addr_stride64_b32 v147, v60, v48 offset1:1
	ds_store_2addr_stride64_b32 v147, v63, v62 offset0:2 offset1:3
	ds_store_2addr_stride64_b32 v147, v52, v53 offset0:4 offset1:5
	;; [unrolled: 1-line block ×3, first 2 shown]
	s_and_saveexec_b32 s3, s2
	s_wait_alu 0xfffe
	s_xor_b32 s2, exec_lo, s3
; %bb.14:
                                        ; implicit-def: $vgpr19
                                        ; implicit-def: $vgpr18
                                        ; implicit-def: $vgpr34
                                        ; implicit-def: $vgpr20
                                        ; implicit-def: $vgpr35
                                        ; implicit-def: $vgpr17
                                        ; implicit-def: $vgpr43
                                        ; implicit-def: $vgpr40
; %bb.15:
	s_wait_alu 0xfffe
	s_or_saveexec_b32 s2, s2
	v_fmac_f16_e32 v51, 0xb9a8, v44
	v_fmac_f16_e64 v185, 0x39a8, v22
	v_sub_f16_e32 v22, v37, v41
	v_add_f16_e64 v186, v36, v42
	v_fmac_f16_e32 v23, 0xb9a8, v39
	v_fmac_f16_e32 v24, 0x39a8, v38
	s_wait_alu 0xfffe
	s_xor_b32 exec_lo, exec_lo, s2
	s_cbranch_execz .LBB0_17
; %bb.16:
	v_fma_f16 v19, v19, 2.0, -v37
	v_fma_f16 v34, v34, 2.0, -v42
	;; [unrolled: 1-line block ×5, first 2 shown]
	v_and_or_b32 v39, 0x2e00, v137, v115
	v_sub_f16_e32 v34, v19, v34
	v_fma_f16 v40, v40, 2.0, -v185
	v_sub_f16_e32 v20, v18, v20
	v_fma_f16 v35, v35, 2.0, -v23
	v_fma_f16 v37, v37, 2.0, -v22
	;; [unrolled: 1-line block ×6, first 2 shown]
	v_dual_mov_b32 v58, 0 :: v_dual_lshlrev_b32 v39, 2, v39
	s_delay_alu instid0(VALU_DEP_4) | instskip(NEXT) | instid1(VALU_DEP_4)
	v_pack_b32_f16 v36, v37, v36
	v_pack_b32_f16 v18, v19, v18
	;; [unrolled: 1-line block ×5, first 2 shown]
	v_perm_b32 v34, v185, v51, 0x5040100
	v_perm_b32 v35, v186, v22, 0x5040100
	;; [unrolled: 1-line block ×3, first 2 shown]
	ds_store_2addr_stride64_b32 v39, v18, v19 offset1:1
	ds_store_2addr_stride64_b32 v39, v36, v17 offset0:2 offset1:3
	ds_store_2addr_stride64_b32 v39, v20, v34 offset0:4 offset1:5
	;; [unrolled: 1-line block ×3, first 2 shown]
.LBB0_17:
	s_or_b32 exec_lo, exec_lo, s2
	v_mad_co_u64_u32 v[36:37], null, v0, 24, s[10:11]
	global_wb scope:SCOPE_SE
	s_wait_dscnt 0x0
	s_barrier_signal -1
	s_barrier_wait -1
	global_inv scope:SCOPE_SE
	v_lshlrev_b32_e32 v21, 3, v21
	s_clause 0x1
	global_load_b128 v[17:20], v[36:37], off offset:2032
	global_load_b64 v[34:35], v[36:37], off offset:2048
	ds_load_2addr_stride64_b32 v[38:39], v73 offset0:16 offset1:24
	v_sub_co_u32 v36, s2, v36, v118
	s_wait_alu 0xf1ff
	v_subrev_co_ci_u32_e64 v37, s2, 0, v37, s2
	s_wait_dscnt 0x0
	v_lshrrev_b32_e32 v40, 16, v39
	s_wait_loadcnt 0x1
	v_lshrrev_b32_e32 v166, 16, v17
	s_wait_loadcnt 0x0
	v_lshrrev_b32_e32 v164, 16, v35
	v_lshrrev_b32_e32 v168, 16, v18
	;; [unrolled: 1-line block ×4, first 2 shown]
	v_mul_f16_e64 v42, v39, v166
	v_mul_f16_e64 v43, v40, v166
	v_lshrrev_b32_e32 v169, 16, v20
	s_delay_alu instid0(VALU_DEP_3)
	v_fmac_f16_e32 v42, v40, v17
	ds_load_2addr_stride64_b32 v[40:41], v73 offset0:144 offset1:160
	v_fma_f16 v39, v39, v17, -v43
	s_wait_dscnt 0x0
	v_lshrrev_b32_e32 v44, 16, v40
	v_mul_f16_e64 v45, v40, v164
	s_delay_alu instid0(VALU_DEP_1) | instskip(SKIP_1) | instid1(VALU_DEP_2)
	v_fmac_f16_e32 v45, v44, v35
	v_mul_f16_e64 v44, v44, v164
	v_add_f16_e32 v62, v42, v45
	v_sub_f16_e32 v63, v42, v45
	ds_load_2addr_stride64_b32 v[42:43], v73 offset0:48 offset1:64
	v_fma_f16 v40, v40, v35, -v44
	s_delay_alu instid0(VALU_DEP_1) | instskip(SKIP_4) | instid1(VALU_DEP_2)
	v_add_f16_e32 v54, v39, v40
	v_sub_f16_e32 v61, v39, v40
	s_wait_dscnt 0x0
	v_lshrrev_b32_e32 v39, 16, v42
	v_mul_f16_e64 v44, v42, v168
	v_mul_f16_e64 v45, v39, v168
	s_delay_alu instid0(VALU_DEP_2)
	v_fmac_f16_e32 v44, v39, v18
	ds_load_2addr_stride64_b32 v[39:40], v73 offset0:120 offset1:136
	v_fma_f16 v42, v42, v18, -v45
	s_wait_dscnt 0x0
	v_lshrrev_b32_e32 v46, 16, v39
	v_mul_f16_e64 v47, v39, v167
	s_delay_alu instid0(VALU_DEP_1) | instskip(SKIP_1) | instid1(VALU_DEP_2)
	v_fmac_f16_e32 v47, v46, v34
	v_mul_f16_e64 v46, v46, v167
	v_sub_f16_e32 v65, v44, v47
	s_delay_alu instid0(VALU_DEP_2) | instskip(NEXT) | instid1(VALU_DEP_1)
	v_fma_f16 v39, v39, v34, -v46
	v_add_f16_e32 v64, v42, v39
	v_sub_f16_e32 v39, v42, v39
	v_add_f16_e32 v42, v44, v47
	ds_load_2addr_stride64_b32 v[44:45], v73 offset0:56 offset1:72
	s_wait_dscnt 0x0
	v_lshrrev_b32_e32 v46, 16, v45
	v_mul_f16_e64 v48, v45, v170
	s_delay_alu instid0(VALU_DEP_2) | instskip(NEXT) | instid1(VALU_DEP_2)
	v_mul_f16_e64 v49, v46, v170
	v_fmac_f16_e32 v48, v46, v19
	ds_load_2addr_stride64_b32 v[46:47], v73 offset0:80 offset1:96
	v_fma_f16 v45, v45, v19, -v49
	s_wait_dscnt 0x0
	v_lshrrev_b32_e32 v50, 16, v47
	v_mul_f16_e64 v52, v47, v169
	s_delay_alu instid0(VALU_DEP_1) | instskip(SKIP_1) | instid1(VALU_DEP_1)
	v_fmac_f16_e32 v52, v50, v20
	v_mul_f16_e64 v50, v50, v169
	v_fma_f16 v47, v47, v20, -v50
	s_delay_alu instid0(VALU_DEP_3) | instskip(SKIP_1) | instid1(VALU_DEP_3)
	v_add_f16_e32 v50, v48, v52
	v_sub_f16_e32 v52, v52, v48
	v_add_f16_e32 v49, v45, v47
	v_sub_f16_e32 v45, v47, v45
	v_add_f16_e32 v47, v64, v54
	s_delay_alu instid0(VALU_DEP_4)
	v_sub_f16_e32 v70, v52, v65
	v_sub_f16_e32 v69, v50, v42
	;; [unrolled: 1-line block ×4, first 2 shown]
	v_add_f16_e32 v53, v49, v47
	v_add_f16_e32 v47, v42, v62
	v_mul_f16_e32 v70, 0xb846, v70
	v_sub_f16_e32 v42, v42, v62
	s_delay_alu instid0(VALU_DEP_3)
	v_add_f16_e32 v59, v50, v47
	ds_load_2addr_stride64_b32 v[47:48], v73 offset1:8
	v_fma_f16 v176, 0x3574, v71, v70
	s_wait_dscnt 0x0
	v_lshrrev_b32_e32 v60, 16, v47
	v_add_f16_e32 v47, v47, v53
	s_delay_alu instid0(VALU_DEP_2) | instskip(NEXT) | instid1(VALU_DEP_2)
	v_add_f16_e32 v60, v60, v59
	v_fmamk_f16 v66, v53, 0xbcab, v47
	v_sub_f16_e32 v53, v54, v49
	v_sub_f16_e32 v49, v62, v50
	v_add_f16_e32 v50, v45, v39
	v_fmamk_f16 v67, v59, 0xbcab, v60
	v_sub_f16_e32 v59, v45, v39
	v_mul_f16_e64 v173, 0x3a52, v53
	v_pack_b32_f16 v47, v47, v60
	v_sub_f16_e32 v45, v61, v45
	v_add_f16_e32 v60, v52, v65
	v_mul_f16_e64 v171, 0xb846, v59
	v_mul_f16_e64 v174, 0x3a52, v49
	v_fma_f16 v49, 0x2b26, v68, v173
	v_add_f16_e32 v72, v50, v61
	v_add_f16_e64 v172, v60, v63
	v_fma_f16 v175, 0x3574, v45, v171
	v_sub_f16_e32 v39, v39, v61
	v_add_f16_e64 v177, v49, v66
	v_fma_f16 v49, 0x2b26, v69, v174
	v_fmac_f16_e64 v176, 0x370e, v172
	v_fmac_f16_e64 v175, 0x370e, v72
	v_fma_f16 v62, v39, 0x3b00, -v171
	v_mul_f16_e32 v39, 0x3b00, v39
	v_add_f16_e64 v178, v49, v67
	v_add_f16_e64 v49, v176, v177
	v_mul_f16_e32 v61, 0x2b26, v68
	v_fmac_f16_e32 v62, 0x370e, v72
	v_fma_f16 v39, v45, 0xb574, -v39
	v_sub_f16_e64 v50, v178, v175
	s_delay_alu instid0(VALU_DEP_2) | instskip(NEXT) | instid1(VALU_DEP_2)
	v_fmac_f16_e32 v39, 0x370e, v72
	v_pack_b32_f16 v179, v49, v50
	ds_load_b32 v180, v73 offset:38912
	ds_load_2addr_stride64_b32 v[49:50], v73 offset0:32 offset1:40
	ds_load_2addr_stride64_b32 v[52:53], v73 offset0:88 offset1:104
	;; [unrolled: 1-line block ×3, first 2 shown]
	global_wb scope:SCOPE_SE
	s_wait_dscnt 0x0
	s_barrier_signal -1
	s_barrier_wait -1
	global_inv scope:SCOPE_SE
	ds_store_2addr_stride64_b32 v73, v47, v179 offset1:8
	v_sub_f16_e32 v47, v64, v54
	v_sub_f16_e32 v54, v65, v63
	v_mul_f16_e32 v63, 0x2b26, v69
	s_delay_alu instid0(VALU_DEP_3) | instskip(NEXT) | instid1(VALU_DEP_3)
	v_fma_f16 v61, v47, 0x39e0, -v61
	v_fma_f16 v45, v54, 0x3b00, -v70
	v_mul_f16_e32 v54, 0x3b00, v54
	v_fma_f16 v47, v47, 0xb9e0, -v173
	v_fma_f16 v63, v42, 0x39e0, -v63
	;; [unrolled: 1-line block ×3, first 2 shown]
	v_fmac_f16_e64 v45, 0x370e, v172
	v_fma_f16 v54, v71, 0xb574, -v54
	v_add_f16_e32 v47, v47, v66
	v_add_f16_e32 v61, v61, v66
	;; [unrolled: 1-line block ×4, first 2 shown]
	v_fmac_f16_e64 v54, 0x370e, v172
	s_delay_alu instid0(VALU_DEP_3) | instskip(SKIP_1) | instid1(VALU_DEP_3)
	v_sub_f16_e32 v65, v42, v39
	v_add_f16_e32 v39, v39, v42
	v_add_f16_e32 v64, v54, v47
	v_sub_f16_e32 v47, v47, v54
	v_mul_f16_e64 v54, v180, v164
	v_add_f16_e32 v66, v62, v63
	s_delay_alu instid0(VALU_DEP_4)
	v_pack_b32_f16 v64, v64, v65
	v_sub_f16_e32 v65, v61, v45
	v_add_f16_e32 v45, v45, v61
	v_sub_f16_e32 v61, v63, v62
	v_pack_b32_f16 v39, v47, v39
	v_mul_f16_e64 v62, v60, v167
	v_mul_f16_e64 v63, v53, v169
	v_pack_b32_f16 v65, v65, v66
	v_pack_b32_f16 v42, v45, v61
	v_lshrrev_b32_e32 v45, 16, v46
	v_mul_f16_e64 v61, v49, v166
	v_lshrrev_b32_e32 v66, 16, v48
	ds_store_2addr_stride64_b32 v73, v64, v65 offset0:16 offset1:24
	ds_store_2addr_stride64_b32 v73, v42, v39 offset0:32 offset1:40
	v_lshrrev_b32_e32 v39, 16, v44
	v_mul_f16_e64 v47, v45, v170
	v_add_f16_e64 v64, v175, v178
	s_delay_alu instid0(VALU_DEP_3) | instskip(NEXT) | instid1(VALU_DEP_3)
	v_mul_f16_e64 v42, v39, v168
	v_fma_f16 v47, v46, v19, -v47
	v_mul_f16_e64 v46, v46, v170
	s_delay_alu instid0(VALU_DEP_3) | instskip(SKIP_1) | instid1(VALU_DEP_3)
	v_fma_f16 v42, v44, v18, -v42
	v_mul_f16_e64 v44, v44, v168
	v_fmac_f16_e32 v46, v45, v19
	s_delay_alu instid0(VALU_DEP_2) | instskip(SKIP_1) | instid1(VALU_DEP_1)
	v_fmac_f16_e32 v44, v39, v18
	v_lshrrev_b32_e32 v39, 16, v180
	v_mul_f16_e64 v45, v39, v164
	v_fmac_f16_e32 v54, v39, v35
	v_lshrrev_b32_e32 v39, 16, v49
	s_delay_alu instid0(VALU_DEP_3) | instskip(NEXT) | instid1(VALU_DEP_2)
	v_fma_f16 v45, v180, v35, -v45
	v_fmac_f16_e32 v61, v39, v17
	v_mul_f16_e64 v39, v39, v166
	s_delay_alu instid0(VALU_DEP_1) | instskip(NEXT) | instid1(VALU_DEP_1)
	v_fma_f16 v39, v49, v17, -v39
	v_add_f16_e32 v49, v39, v45
	v_sub_f16_e32 v39, v39, v45
	v_add_f16_e32 v45, v61, v54
	v_sub_f16_e32 v54, v61, v54
	v_lshrrev_b32_e32 v61, 16, v60
	s_delay_alu instid0(VALU_DEP_1) | instskip(SKIP_1) | instid1(VALU_DEP_1)
	v_fmac_f16_e32 v62, v61, v34
	v_mul_f16_e64 v61, v61, v167
	v_fma_f16 v60, v60, v34, -v61
	s_delay_alu instid0(VALU_DEP_1)
	v_add_f16_e32 v61, v42, v60
	v_sub_f16_e32 v42, v42, v60
	v_add_f16_e32 v60, v44, v62
	v_sub_f16_e32 v44, v44, v62
	v_lshrrev_b32_e32 v62, 16, v53
	v_add_f16_e32 v65, v61, v49
	s_delay_alu instid0(VALU_DEP_4) | instskip(NEXT) | instid1(VALU_DEP_3)
	v_add_f16_e32 v67, v60, v45
	v_fmac_f16_e32 v63, v62, v20
	v_mul_f16_e64 v62, v62, v169
	s_delay_alu instid0(VALU_DEP_1) | instskip(NEXT) | instid1(VALU_DEP_1)
	v_fma_f16 v53, v53, v20, -v62
	v_add_f16_e32 v62, v47, v53
	v_sub_f16_e32 v47, v53, v47
	v_add_f16_e32 v53, v46, v63
	v_sub_f16_e32 v46, v63, v46
	v_sub_f16_e64 v63, v177, v176
	v_add_f16_e32 v65, v62, v65
	v_add_f16_e32 v69, v47, v42
	v_sub_f16_e32 v70, v47, v42
	v_sub_f16_e32 v47, v39, v47
	v_pack_b32_f16 v63, v63, v64
	v_sub_f16_e32 v64, v49, v62
	v_add_f16_e32 v69, v69, v39
	v_sub_f16_e32 v39, v42, v39
	v_add_f16_e32 v67, v53, v67
	;; [unrolled: 2-line block ×3, first 2 shown]
	v_sub_f16_e32 v72, v46, v44
	v_mul_f16_e32 v70, 0xb846, v70
	v_sub_f16_e32 v42, v61, v49
	v_sub_f16_e32 v44, v44, v54
	v_mul_f16_e32 v49, 0x3b00, v39
	v_add_f16_e32 v48, v48, v65
	v_sub_f16_e32 v46, v54, v46
	v_mul_f16_e32 v64, 0x3a52, v64
	v_add_f16_e32 v66, v66, v67
	v_mul_f16_e32 v68, 0x3a52, v68
	v_mul_f16_e32 v72, 0xb846, v72
	v_fma_f16 v171, 0x3574, v47, v70
	v_sub_f16_e32 v45, v60, v45
	v_fma_f16 v47, v47, 0xb574, -v49
	v_mul_f16_e32 v49, 0x3b00, v44
	v_add_f16_e32 v71, v71, v54
	v_fmamk_f16 v65, v65, 0xbcab, v48
	v_fmamk_f16 v67, v67, 0xbcab, v66
	v_fma_f16 v172, 0x3574, v46, v72
	v_fma_f16 v46, v46, 0xb574, -v49
	v_fma_f16 v49, v42, 0xb9e0, -v64
	;; [unrolled: 1-line block ×3, first 2 shown]
	v_fmac_f16_e32 v47, 0x370e, v69
	v_sub_f16_e32 v62, v62, v61
	v_fmac_f16_e32 v46, 0x370e, v71
	v_add_f16_e32 v49, v49, v65
	v_add_f16_e32 v54, v54, v67
	v_sub_f16_e32 v53, v53, v60
	v_pack_b32_f16 v48, v48, v66
	v_fma_f16 v173, 0x2b26, v62, v64
	v_add_f16_e32 v60, v46, v49
	v_sub_f16_e32 v61, v54, v47
	v_fma_f16 v174, 0x2b26, v53, v68
	v_fma_f16 v39, v39, 0x3b00, -v70
	v_fma_f16 v44, v44, 0x3b00, -v72
	v_fmac_f16_e64 v171, 0x370e, v69
	v_pack_b32_f16 v60, v60, v61
	v_fmac_f16_e64 v172, 0x370e, v71
	v_add_f16_e64 v173, v173, v65
	v_add_f16_e64 v174, v174, v67
	v_fmac_f16_e32 v39, 0x370e, v69
	ds_store_2addr_stride64_b32 v73, v48, v60 offset0:56 offset1:72
	v_mul_f16_e32 v48, 0x2b26, v62
	v_fmac_f16_e32 v44, 0x370e, v71
	v_sub_f16_e32 v46, v49, v46
	v_add_f16_e32 v47, v47, v54
	v_lshrrev_b32_e32 v54, 16, v41
	v_fma_f16 v42, v42, 0x39e0, -v48
	v_mul_f16_e32 v48, 0x2b26, v53
	v_lshrrev_b32_e32 v60, 16, v40
	v_pack_b32_f16 v46, v46, v47
	v_lshrrev_b32_e32 v47, 16, v52
	v_add_f16_e32 v42, v42, v65
	v_fma_f16 v45, v45, 0x39e0, -v48
	v_mul_f16_e64 v53, v59, v169
	v_mul_f16_e64 v61, v60, v167
	v_add_f16_e64 v175, v172, v173
	v_sub_f16_e32 v48, v42, v44
	v_add_f16_e32 v45, v45, v67
	v_add_f16_e32 v42, v44, v42
	v_sub_f16_e64 v44, v173, v172
	v_fma_f16 v61, v40, v34, -v61
	v_mul_f16_e64 v40, v40, v167
	v_add_f16_e32 v49, v39, v45
	v_sub_f16_e32 v39, v45, v39
	v_add_f16_e64 v45, v171, v174
	v_sub_f16_e64 v176, v174, v171
	v_fmac_f16_e32 v40, v60, v34
	v_pack_b32_f16 v48, v48, v49
	v_pack_b32_f16 v39, v42, v39
	;; [unrolled: 1-line block ×3, first 2 shown]
	v_mul_f16_e64 v44, v50, v166
	v_lshrrev_b32_e32 v45, 16, v43
	ds_store_2addr_stride64_b32 v73, v48, v46 offset0:80 offset1:96
	v_mul_f16_e64 v48, v47, v170
	ds_store_2addr_stride64_b32 v73, v39, v42 offset0:88 offset1:104
	v_lshrrev_b32_e32 v39, 16, v50
	v_mul_f16_e64 v49, v52, v170
	v_mul_f16_e64 v46, v45, v168
	v_fma_f16 v48, v52, v19, -v48
	v_pack_b32_f16 v175, v175, v176
	v_mul_f16_e64 v42, v39, v166
	v_fmac_f16_e32 v44, v39, v17
	v_fma_f16 v46, v43, v18, -v46
	v_mul_f16_e64 v43, v43, v168
	v_fmac_f16_e32 v49, v47, v19
	v_fma_f16 v42, v50, v17, -v42
	v_lshrrev_b32_e32 v50, 16, v59
	ds_store_2addr_stride64_b32 v73, v63, v175 offset0:48 offset1:64
	v_fmac_f16_e32 v43, v45, v18
	v_mul_f16_e64 v52, v50, v169
	v_fmac_f16_e32 v53, v50, v20
	s_delay_alu instid0(VALU_DEP_3) | instskip(SKIP_1) | instid1(VALU_DEP_4)
	v_add_f16_e32 v47, v43, v40
	v_sub_f16_e32 v40, v43, v40
	v_fma_f16 v52, v59, v20, -v52
	v_mul_f16_e64 v59, v54, v164
	v_add_f16_e32 v50, v49, v53
	v_sub_f16_e32 v49, v53, v49
	v_lshrrev_b32_e32 v53, 16, v38
	v_add_f16_e32 v43, v48, v52
	v_fma_f16 v59, v41, v35, -v59
	v_mul_f16_e64 v41, v41, v164
	v_sub_f16_e32 v48, v52, v48
	s_delay_alu instid0(VALU_DEP_3) | instskip(NEXT) | instid1(VALU_DEP_3)
	v_add_f16_e32 v39, v42, v59
	v_fmac_f16_e32 v41, v54, v35
	v_sub_f16_e32 v42, v42, v59
	s_delay_alu instid0(VALU_DEP_2)
	v_add_f16_e32 v45, v44, v41
	v_sub_f16_e32 v41, v44, v41
	v_add_f16_e32 v44, v46, v61
	v_sub_f16_e32 v46, v46, v61
	v_add_f16_e32 v61, v49, v40
	v_add_f16_e32 v54, v47, v45
	v_sub_f16_e32 v60, v42, v48
	v_add_f16_e32 v52, v44, v39
	v_add_f16_e32 v59, v48, v46
	;; [unrolled: 1-line block ×4, first 2 shown]
	v_sub_f16_e32 v62, v41, v49
	v_add_f16_e32 v52, v43, v52
	v_add_f16_e32 v59, v59, v42
	v_sub_f16_e32 v42, v46, v42
	v_add_f16_e32 v53, v53, v54
	v_sub_f16_e32 v41, v40, v41
	;; [unrolled: 2-line block ×3, first 2 shown]
	v_mul_f16_e32 v63, 0x3b00, v42
	v_fmamk_f16 v54, v54, 0xbcab, v53
	v_mul_f16_e32 v64, 0x3b00, v41
	v_fmamk_f16 v52, v52, 0xbcab, v38
	v_pack_b32_f16 v38, v38, v53
	v_sub_f16_e32 v53, v44, v39
	v_sub_f16_e32 v39, v39, v43
	;; [unrolled: 1-line block ×3, first 2 shown]
	v_mul_f16_e32 v65, 0x3a52, v65
	v_fma_f16 v63, v60, 0xb574, -v63
	v_fma_f16 v64, v62, 0xb574, -v64
	v_mul_f16_e32 v39, 0x3a52, v39
	v_sub_f16_e32 v40, v49, v40
	v_fma_f16 v67, v45, 0xb9e0, -v65
	v_fmac_f16_e32 v63, 0x370e, v59
	v_fmac_f16_e32 v64, 0x370e, v61
	v_fma_f16 v66, v53, 0xb9e0, -v39
	v_mul_f16_e32 v40, 0xb846, v40
	v_add_f16_e32 v67, v67, v54
	s_delay_alu instid0(VALU_DEP_3) | instskip(NEXT) | instid1(VALU_DEP_2)
	v_add_f16_e32 v66, v66, v52
	v_sub_f16_e32 v69, v67, v63
	s_delay_alu instid0(VALU_DEP_2) | instskip(NEXT) | instid1(VALU_DEP_1)
	v_add_f16_e32 v68, v64, v66
	v_pack_b32_f16 v68, v68, v69
	ds_store_2addr_stride64_b32 v73, v38, v68 offset0:112 offset1:128
	v_sub_f16_e32 v38, v43, v44
	v_sub_f16_e32 v44, v48, v46
	;; [unrolled: 1-line block ×3, first 2 shown]
	s_delay_alu instid0(VALU_DEP_3) | instskip(NEXT) | instid1(VALU_DEP_3)
	v_fmamk_f16 v39, v38, 0x2b26, v39
	v_mul_f16_e32 v44, 0xb846, v44
	v_mul_f16_e32 v38, 0x2b26, v38
	s_delay_alu instid0(VALU_DEP_3) | instskip(NEXT) | instid1(VALU_DEP_3)
	v_add_f16_e32 v39, v39, v52
	v_fmamk_f16 v46, v60, 0x3574, v44
	v_fma_f16 v42, v42, 0x3b00, -v44
	v_fmamk_f16 v44, v62, 0x3574, v40
	v_fma_f16 v40, v41, 0x3b00, -v40
	v_fmamk_f16 v41, v43, 0x2b26, v65
	v_mul_f16_e32 v43, 0x2b26, v43
	v_fma_f16 v38, v53, 0x39e0, -v38
	v_fmac_f16_e32 v46, 0x370e, v59
	v_fmac_f16_e32 v44, 0x370e, v61
	v_add_f16_e32 v41, v41, v54
	v_fma_f16 v43, v45, 0x39e0, -v43
	v_fmac_f16_e32 v42, 0x370e, v59
	v_fmac_f16_e32 v40, 0x370e, v61
	v_add_f16_e32 v38, v38, v52
	v_add_f16_e32 v45, v44, v39
	;; [unrolled: 1-line block ×3, first 2 shown]
	v_sub_f16_e32 v47, v41, v46
	v_sub_f16_e32 v39, v39, v44
	v_add_f16_e32 v41, v46, v41
	s_delay_alu instid0(VALU_DEP_4) | instskip(NEXT) | instid1(VALU_DEP_4)
	v_add_f16_e32 v48, v42, v43
	v_pack_b32_f16 v45, v45, v47
	v_sub_f16_e32 v47, v38, v40
	v_add_f16_e32 v38, v40, v38
	v_sub_f16_e32 v40, v43, v42
	v_pack_b32_f16 v39, v39, v41
	s_delay_alu instid0(VALU_DEP_4) | instskip(NEXT) | instid1(VALU_DEP_3)
	v_pack_b32_f16 v47, v47, v48
	v_pack_b32_f16 v38, v38, v40
	ds_store_2addr_stride64_b32 v73, v45, v47 offset0:120 offset1:136
	ds_store_2addr_stride64_b32 v73, v38, v39 offset0:144 offset1:160
	v_sub_f16_e32 v38, v66, v64
	v_add_f16_e32 v39, v63, v67
	s_delay_alu instid0(VALU_DEP_1)
	v_pack_b32_f16 v38, v38, v39
	ds_store_b32 v73, v38 offset:38912
	global_wb scope:SCOPE_SE
	s_wait_dscnt 0x0
	s_barrier_signal -1
	s_barrier_wait -1
	global_inv scope:SCOPE_SE
	global_load_b64 v[42:43], v[36:37], off offset:14320
	v_add_co_u32 v38, s2, s10, v137
	s_wait_alu 0xf1ff
	v_add_co_ci_u32_e64 v39, s2, s11, v58, s2
	v_add_co_u32 v36, s2, s10, v57
	s_wait_alu 0xf1ff
	v_add_co_ci_u32_e64 v37, null, s11, 0, s2
	s_clause 0x1
	global_load_b64 v[40:41], v[36:37], off offset:14320
	global_load_b64 v[38:39], v[38:39], off offset:14320
	v_lshlrev_b32_e32 v36, 3, v56
	ds_load_2addr_stride64_b32 v[44:45], v73 offset0:56 offset1:72
	ds_load_2addr_stride64_b32 v[52:53], v73 offset0:48 offset1:64
	;; [unrolled: 1-line block ×3, first 2 shown]
	s_add_nc_u64 s[2:3], s[12:13], 0xa800
	global_load_b64 v[36:37], v36, s[10:11] offset:14320
	s_wait_dscnt 0x2
	v_lshrrev_b32_e32 v46, 16, v44
	s_wait_dscnt 0x0
	v_lshrrev_b32_e32 v54, 16, v56
	s_wait_loadcnt 0x3
	v_lshrrev_b32_e32 v172, 16, v42
	v_lshrrev_b32_e32 v171, 16, v43
	s_delay_alu instid0(VALU_DEP_2) | instskip(SKIP_1) | instid1(VALU_DEP_2)
	v_mul_f16_e64 v59, v44, v172
	v_mul_f16_e64 v48, v46, v172
	v_fmac_f16_e32 v59, v46, v42
	ds_load_2addr_stride64_b32 v[46:47], v73 offset0:112 offset1:128
	v_fma_f16 v61, v44, v42, -v48
	s_wait_loadcnt 0x2
	v_lshrrev_b32_e32 v174, 16, v40
	v_lshrrev_b32_e32 v173, 16, v41
	s_wait_loadcnt 0x1
	v_lshrrev_b32_e32 v177, 16, v38
	v_lshrrev_b32_e32 v176, 16, v39
	v_mul_f16_e64 v50, v53, v174
	v_mul_f16_e64 v58, v56, v173
	s_delay_alu instid0(VALU_DEP_4)
	v_mul_f16_e64 v69, v45, v177
	s_wait_loadcnt 0x0
	v_lshrrev_b32_e32 v175, 16, v37
	v_lshrrev_b32_e32 v178, 16, v36
	v_fmac_f16_e32 v58, v54, v41
	v_mul_f16_e64 v54, v54, v173
	s_wait_dscnt 0x0
	v_lshrrev_b32_e32 v49, 16, v46
	v_mul_f16_e64 v60, v46, v171
	v_mul_f16_e64 v71, v47, v176
	s_delay_alu instid0(VALU_DEP_2) | instskip(SKIP_1) | instid1(VALU_DEP_1)
	v_fmac_f16_e32 v60, v49, v43
	v_mul_f16_e64 v49, v49, v171
	v_fma_f16 v62, v46, v43, -v49
	ds_load_2addr_stride64_b32 v[48:49], v73 offset1:8
	s_wait_dscnt 0x0
	v_lshrrev_b32_e32 v63, 16, v48
	v_add_f16_e32 v44, v48, v61
	s_delay_alu instid0(VALU_DEP_2) | instskip(NEXT) | instid1(VALU_DEP_2)
	v_add_f16_e32 v46, v63, v59
	v_add_f16_e32 v44, v44, v62
	s_delay_alu instid0(VALU_DEP_2) | instskip(NEXT) | instid1(VALU_DEP_1)
	v_add_f16_e32 v46, v46, v60
	v_pack_b32_f16 v44, v44, v46
	v_lshrrev_b32_e32 v46, 16, v53
	s_delay_alu instid0(VALU_DEP_1) | instskip(SKIP_1) | instid1(VALU_DEP_1)
	v_fmac_f16_e32 v50, v46, v40
	v_mul_f16_e64 v46, v46, v174
	v_fma_f16 v46, v53, v40, -v46
	v_fma_f16 v53, v56, v41, -v54
	v_lshrrev_b32_e32 v56, 16, v49
	s_delay_alu instid0(VALU_DEP_3) | instskip(NEXT) | instid1(VALU_DEP_2)
	v_add_f16_e32 v54, v49, v46
	v_add_f16_e32 v64, v56, v50
	s_delay_alu instid0(VALU_DEP_2) | instskip(NEXT) | instid1(VALU_DEP_2)
	v_add_f16_e32 v54, v54, v53
	v_add_f16_e32 v64, v64, v58
	s_delay_alu instid0(VALU_DEP_1)
	v_pack_b32_f16 v54, v54, v64
	ds_store_2addr_stride64_b32 v73, v44, v54 offset1:8
	v_add_f16_e32 v54, v46, v53
	v_sub_f16_e32 v44, v50, v58
	v_add_f16_e32 v50, v50, v58
	v_sub_f16_e32 v46, v46, v53
	s_delay_alu instid0(VALU_DEP_4) | instskip(NEXT) | instid1(VALU_DEP_3)
	v_fmac_f16_e32 v49, -0.5, v54
	v_fmac_f16_e32 v56, -0.5, v50
	s_delay_alu instid0(VALU_DEP_2) | instskip(SKIP_2) | instid1(VALU_DEP_4)
	v_fmamk_f16 v64, v44, 0x3aee, v49
	v_fmac_f16_e32 v49, 0xbaee, v44
	v_add_f16_e32 v44, v61, v62
	v_fmamk_f16 v65, v46, 0xbaee, v56
	v_fmac_f16_e32 v56, 0x3aee, v46
	s_delay_alu instid0(VALU_DEP_3) | instskip(SKIP_2) | instid1(VALU_DEP_4)
	v_fma_f16 v66, -0.5, v44, v48
	v_lshrrev_b32_e32 v44, 16, v45
	v_mul_f16_e64 v48, v57, v175
	v_pack_b32_f16 v67, v49, v56
	s_delay_alu instid0(VALU_DEP_3) | instskip(SKIP_1) | instid1(VALU_DEP_2)
	v_mul_f16_e64 v46, v44, v177
	v_fmac_f16_e32 v69, v44, v38
	v_fma_f16 v68, v45, v38, -v46
	v_lshrrev_b32_e32 v45, 16, v47
	s_delay_alu instid0(VALU_DEP_1) | instskip(SKIP_4) | instid1(VALU_DEP_1)
	v_mul_f16_e64 v46, v45, v176
	v_fmac_f16_e32 v71, v45, v39
	ds_load_2addr_stride64_b32 v[44:45], v73 offset0:16 offset1:24
	v_fma_f16 v70, v47, v39, -v46
	v_lshrrev_b32_e32 v46, 16, v57
	v_mul_f16_e64 v47, v46, v175
	v_fmac_f16_e32 v48, v46, v37
	s_delay_alu instid0(VALU_DEP_2) | instskip(SKIP_4) | instid1(VALU_DEP_3)
	v_fma_f16 v47, v57, v37, -v47
	s_wait_dscnt 0x0
	v_lshrrev_b32_e32 v72, 16, v44
	v_add_f16_e32 v46, v44, v68
	v_lshrrev_b32_e32 v56, 16, v45
	v_add_f16_e32 v49, v72, v69
	s_delay_alu instid0(VALU_DEP_3) | instskip(NEXT) | instid1(VALU_DEP_2)
	v_add_f16_e32 v46, v46, v70
	v_add_f16_e32 v49, v49, v71
	s_delay_alu instid0(VALU_DEP_1) | instskip(SKIP_4) | instid1(VALU_DEP_1)
	v_pack_b32_f16 v46, v46, v49
	ds_load_2addr_stride64_b32 v[49:50], v73 offset0:80 offset1:96
	s_wait_dscnt 0x0
	v_lshrrev_b32_e32 v53, 16, v49
	v_mul_f16_e64 v54, v49, v178
	v_fmac_f16_e32 v54, v53, v36
	v_mul_f16_e64 v53, v53, v178
	s_delay_alu instid0(VALU_DEP_2) | instskip(NEXT) | instid1(VALU_DEP_2)
	v_add_f16_e32 v57, v56, v54
	v_fma_f16 v49, v49, v36, -v53
	s_delay_alu instid0(VALU_DEP_2) | instskip(NEXT) | instid1(VALU_DEP_2)
	v_add_f16_e32 v57, v57, v48
	v_add_f16_e32 v53, v45, v49
	s_delay_alu instid0(VALU_DEP_1) | instskip(NEXT) | instid1(VALU_DEP_1)
	v_add_f16_e32 v53, v53, v47
	v_pack_b32_f16 v53, v53, v57
	ds_store_2addr_stride64_b32 v73, v46, v53 offset0:16 offset1:24
	v_sub_f16_e32 v46, v54, v48
	v_add_f16_e32 v48, v54, v48
	v_add_f16_e32 v53, v49, v47
	v_sub_f16_e32 v47, v49, v47
	s_delay_alu instid0(VALU_DEP_3) | instskip(NEXT) | instid1(VALU_DEP_3)
	v_fmac_f16_e32 v56, -0.5, v48
	v_fmac_f16_e32 v45, -0.5, v53
	v_lshlrev_b32_e32 v48, 3, v55
	s_delay_alu instid0(VALU_DEP_3) | instskip(NEXT) | instid1(VALU_DEP_3)
	v_fma_f16 v184, 0xbaee, v47, v56
	v_fma_f16 v183, 0x3aee, v46, v45
	v_fmac_f16_e32 v45, 0xbaee, v46
	v_fmac_f16_e32 v56, 0x3aee, v47
	v_add_f16_e32 v46, v68, v70
	s_delay_alu instid0(VALU_DEP_2) | instskip(NEXT) | instid1(VALU_DEP_2)
	v_pack_b32_f16 v188, v45, v56
	v_fma_f16 v187, -0.5, v46, v44
	global_load_b64 v[44:45], v21, s[10:11] offset:14320
	v_lshl_or_b32 v21, v0, 3, 0x6000
	s_clause 0x1
	global_load_b64 v[46:47], v21, s[10:11] offset:14320
	global_load_b64 v[48:49], v48, s[10:11] offset:14320
	v_lshrrev_b32_e32 v21, 16, v50
	s_wait_loadcnt 0x2
	v_lshrrev_b32_e32 v179, 16, v44
	v_lshrrev_b32_e32 v180, 16, v45
	s_delay_alu instid0(VALU_DEP_2) | instskip(SKIP_3) | instid1(VALU_DEP_3)
	v_mul_f16_e64 v53, v21, v179
	s_wait_loadcnt 0x0
	v_lshrrev_b32_e32 v182, 16, v48
	v_lshrrev_b32_e32 v181, 16, v49
	v_fma_f16 v189, v50, v44, -v53
	v_mul_f16_e64 v50, v50, v179
	s_delay_alu instid0(VALU_DEP_1) | instskip(SKIP_3) | instid1(VALU_DEP_1)
	v_fmac_f16_e32 v50, v21, v44
	ds_load_b32 v21, v73 offset:38912
	s_wait_dscnt 0x0
	v_lshrrev_b32_e32 v53, 16, v21
	v_mul_f16_e64 v54, v53, v180
	s_delay_alu instid0(VALU_DEP_1) | instskip(SKIP_1) | instid1(VALU_DEP_1)
	v_fma_f16 v190, v21, v45, -v54
	v_mul_f16_e64 v21, v21, v180
	v_fmac_f16_e32 v21, v53, v45
	ds_load_2addr_stride64_b32 v[53:54], v73 offset0:88 offset1:104
	s_wait_dscnt 0x0
	v_lshrrev_b32_e32 v55, 16, v53
	v_mul_f16_e64 v191, v53, v182
	s_delay_alu instid0(VALU_DEP_2) | instskip(NEXT) | instid1(VALU_DEP_2)
	v_mul_f16_e64 v57, v55, v182
	v_fmac_f16_e64 v191, v55, v48
	ds_load_2addr_stride64_b32 v[55:56], v73 offset0:144 offset1:160
	v_fma_f16 v53, v53, v48, -v57
	s_wait_dscnt 0x0
	v_lshrrev_b32_e32 v58, 16, v55
	v_mul_f16_e64 v192, v55, v181
	s_delay_alu instid0(VALU_DEP_1) | instskip(SKIP_1) | instid1(VALU_DEP_1)
	v_fmac_f16_e64 v192, v58, v49
	v_mul_f16_e64 v58, v58, v181
	v_fma_f16 v55, v55, v49, -v58
	ds_load_2addr_stride64_b32 v[57:58], v73 offset0:32 offset1:40
	s_wait_dscnt 0x0
	v_lshrrev_b32_e32 v194, 16, v57
	v_add_f16_e64 v193, v57, v53
	v_lshrrev_b32_e32 v196, 16, v58
	s_delay_alu instid0(VALU_DEP_3) | instskip(NEXT) | instid1(VALU_DEP_3)
	v_add_f16_e64 v195, v194, v191
	v_add_f16_e64 v193, v193, v55
	s_delay_alu instid0(VALU_DEP_3) | instskip(NEXT) | instid1(VALU_DEP_3)
	v_add_f16_e64 v197, v196, v50
	v_add_f16_e64 v195, v195, v192
	s_delay_alu instid0(VALU_DEP_2) | instskip(NEXT) | instid1(VALU_DEP_2)
	v_add_f16_e64 v197, v197, v21
	v_pack_b32_f16 v193, v193, v195
	v_add_f16_e64 v195, v58, v189
	s_delay_alu instid0(VALU_DEP_1) | instskip(NEXT) | instid1(VALU_DEP_1)
	v_add_f16_e64 v195, v195, v190
	v_pack_b32_f16 v195, v195, v197
	ds_store_2addr_stride64_b32 v73, v193, v195 offset0:32 offset1:40
	v_sub_f16_e64 v193, v50, v21
	v_add_f16_e32 v21, v50, v21
	v_add_f16_e64 v50, v189, v190
	s_delay_alu instid0(VALU_DEP_2) | instskip(NEXT) | instid1(VALU_DEP_2)
	v_fmac_f16_e64 v196, -0.5, v21
	v_fmac_f16_e32 v58, -0.5, v50
	v_sub_f16_e64 v50, v189, v190
	s_delay_alu instid0(VALU_DEP_2) | instskip(SKIP_1) | instid1(VALU_DEP_3)
	v_fma_f16 v21, 0x3aee, v193, v58
	v_fmac_f16_e64 v58, 0xbaee, v193
	v_fma_f16 v189, 0xbaee, v50, v196
	v_fmac_f16_e64 v196, 0x3aee, v50
	v_add_f16_e32 v50, v53, v55
	v_sub_f16_e32 v53, v53, v55
	s_delay_alu instid0(VALU_DEP_4) | instskip(NEXT) | instid1(VALU_DEP_3)
	v_pack_b32_f16 v21, v21, v189
	v_fma_f16 v50, -0.5, v50, v57
	v_pack_b32_f16 v57, v58, v196
	v_add_f16_e32 v58, v59, v60
	v_sub_f16_e32 v59, v59, v60
	v_sub_f16_e32 v60, v61, v62
	;; [unrolled: 1-line block ×4, first 2 shown]
	v_fmac_f16_e32 v63, -0.5, v58
	v_add_f16_e32 v58, v69, v71
	s_delay_alu instid0(VALU_DEP_2) | instskip(NEXT) | instid1(VALU_DEP_2)
	v_fmamk_f16 v68, v60, 0xbaee, v63
	v_fmac_f16_e32 v72, -0.5, v58
	v_fmamk_f16 v58, v59, 0x3aee, v66
	v_fmac_f16_e32 v66, 0xbaee, v59
	v_fmac_f16_e32 v63, 0x3aee, v60
	s_delay_alu instid0(VALU_DEP_4) | instskip(NEXT) | instid1(VALU_DEP_4)
	v_fmamk_f16 v69, v62, 0xbaee, v72
	v_pack_b32_f16 v58, v58, v68
	v_fma_f16 v68, 0x3aee, v61, v187
	v_fmac_f16_e64 v187, 0xbaee, v61
	v_fmac_f16_e32 v72, 0x3aee, v62
	s_delay_alu instid0(VALU_DEP_3) | instskip(NEXT) | instid1(VALU_DEP_2)
	v_pack_b32_f16 v68, v68, v69
	v_pack_b32_f16 v59, v187, v72
	ds_store_2addr_stride64_b32 v73, v58, v68 offset0:56 offset1:72
	v_pack_b32_f16 v58, v66, v63
	ds_store_2addr_stride64_b32 v73, v58, v59 offset0:112 offset1:128
	ds_store_2addr_stride64_b32 v73, v67, v188 offset0:120 offset1:136
	v_pack_b32_f16 v58, v183, v184
	v_lshrrev_b32_e32 v184, 16, v46
	v_lshrrev_b32_e32 v59, 16, v56
	;; [unrolled: 1-line block ×3, first 2 shown]
	ds_store_2addr_stride64_b32 v73, v58, v21 offset0:80 offset1:96
	v_lshrrev_b32_e32 v21, 16, v54
	v_mul_f16_e64 v60, v59, v183
	s_delay_alu instid0(VALU_DEP_2) | instskip(NEXT) | instid1(VALU_DEP_2)
	v_mul_f16_e64 v58, v21, v184
	v_fma_f16 v60, v56, v47, -v60
	v_mul_f16_e64 v56, v56, v183
	s_delay_alu instid0(VALU_DEP_3) | instskip(SKIP_1) | instid1(VALU_DEP_3)
	v_fma_f16 v58, v54, v46, -v58
	v_mul_f16_e64 v54, v54, v184
	v_fmac_f16_e32 v56, v59, v47
	s_delay_alu instid0(VALU_DEP_2) | instskip(NEXT) | instid1(VALU_DEP_4)
	v_fmac_f16_e32 v54, v21, v46
	v_add_f16_e32 v21, v52, v58
	s_delay_alu instid0(VALU_DEP_2) | instskip(NEXT) | instid1(VALU_DEP_2)
	v_sub_f16_e32 v55, v54, v56
	v_add_f16_e32 v59, v21, v60
	v_lshrrev_b32_e32 v21, 16, v52
	s_delay_alu instid0(VALU_DEP_1) | instskip(SKIP_1) | instid1(VALU_DEP_2)
	v_add_f16_e32 v61, v21, v54
	v_add_f16_e32 v54, v54, v56
	;; [unrolled: 1-line block ×4, first 2 shown]
	v_sub_f16_e32 v58, v58, v60
	s_delay_alu instid0(VALU_DEP_4) | instskip(NEXT) | instid1(VALU_DEP_4)
	v_fmac_f16_e32 v21, -0.5, v54
	v_pack_b32_f16 v59, v59, v61
	v_pack_b32_f16 v61, v64, v65
	v_fmac_f16_e32 v52, -0.5, v56
	ds_store_2addr_stride64_b32 v73, v59, v61 offset0:48 offset1:64
	v_add_f16_e64 v59, v191, v192
	v_sub_f16_e64 v61, v191, v192
	s_delay_alu instid0(VALU_DEP_2) | instskip(NEXT) | instid1(VALU_DEP_2)
	v_fmac_f16_e64 v194, -0.5, v59
	v_fmamk_f16 v54, v61, 0x3aee, v50
	v_fmamk_f16 v59, v58, 0xbaee, v21
	v_fmac_f16_e32 v50, 0xbaee, v61
	v_fmac_f16_e32 v21, 0x3aee, v58
	v_fma_f16 v56, 0xbaee, v53, v194
	v_fmac_f16_e64 v194, 0x3aee, v53
	s_delay_alu instid0(VALU_DEP_2) | instskip(SKIP_2) | instid1(VALU_DEP_4)
	v_pack_b32_f16 v54, v54, v56
	v_fmamk_f16 v56, v55, 0x3aee, v52
	v_fmac_f16_e32 v52, 0xbaee, v55
	v_pack_b32_f16 v50, v50, v194
	s_delay_alu instid0(VALU_DEP_3) | instskip(NEXT) | instid1(VALU_DEP_3)
	v_pack_b32_f16 v56, v56, v59
	v_pack_b32_f16 v53, v52, v21
	ds_store_2addr_stride64_b32 v73, v54, v56 offset0:88 offset1:104
	ds_store_2addr_stride64_b32 v73, v50, v53 offset0:144 offset1:160
	ds_store_b32 v73, v57 offset:38912
	global_wb scope:SCOPE_SE
	s_wait_dscnt 0x0
	s_barrier_signal -1
	s_barrier_wait -1
	global_inv scope:SCOPE_SE
	s_clause 0x4
	global_load_b32 v50, v[31:32], off offset:43008
	global_load_b32 v55, v73, s[2:3] offset:2048
	global_load_b32 v56, v73, s[2:3] offset:4096
	;; [unrolled: 1-line block ×4, first 2 shown]
	ds_load_2addr_stride64_b32 v[53:54], v73 offset1:8
	s_wait_dscnt 0x0
	v_lshrrev_b32_e32 v60, 16, v53
	s_wait_loadcnt 0x4
	v_lshrrev_b32_e32 v59, 16, v50
	s_delay_alu instid0(VALU_DEP_1) | instskip(NEXT) | instid1(VALU_DEP_3)
	v_mul_f16_e32 v61, v53, v59
	v_mul_f16_e32 v59, v60, v59
	s_delay_alu instid0(VALU_DEP_2) | instskip(NEXT) | instid1(VALU_DEP_2)
	v_fmac_f16_e32 v61, v60, v50
	v_fma_f16 v50, v53, v50, -v59
	v_lshrrev_b32_e32 v53, 16, v54
	s_wait_loadcnt 0x3
	v_lshrrev_b32_e32 v59, 16, v55
	s_delay_alu instid0(VALU_DEP_3) | instskip(NEXT) | instid1(VALU_DEP_2)
	v_pack_b32_f16 v50, v50, v61
	v_mul_f16_e32 v60, v53, v59
	v_mul_f16_e32 v59, v54, v59
	s_delay_alu instid0(VALU_DEP_2) | instskip(NEXT) | instid1(VALU_DEP_2)
	v_fma_f16 v60, v54, v55, -v60
	v_fmac_f16_e32 v59, v53, v55
	s_clause 0x5
	global_load_b32 v55, v73, s[2:3] offset:21504
	global_load_b32 v62, v73, s[2:3] offset:23552
	;; [unrolled: 1-line block ×6, first 2 shown]
	ds_load_2addr_stride64_b32 v[53:54], v73 offset0:84 offset1:92
	v_pack_b32_f16 v59, v60, v59
	s_wait_dscnt 0x0
	v_lshrrev_b32_e32 v68, 16, v53
	s_wait_loadcnt 0x5
	v_lshrrev_b32_e32 v67, 16, v55
	s_delay_alu instid0(VALU_DEP_1) | instskip(NEXT) | instid1(VALU_DEP_3)
	v_mul_f16_e32 v69, v53, v67
	v_mul_f16_e32 v67, v68, v67
	s_delay_alu instid0(VALU_DEP_2) | instskip(NEXT) | instid1(VALU_DEP_2)
	v_fmac_f16_e32 v69, v68, v55
	v_fma_f16 v55, v53, v55, -v67
	v_lshrrev_b32_e32 v53, 16, v54
	s_wait_loadcnt 0x4
	v_lshrrev_b32_e32 v67, 16, v62
	s_delay_alu instid0(VALU_DEP_1) | instskip(SKIP_1) | instid1(VALU_DEP_2)
	v_mul_f16_e32 v68, v53, v67
	v_mul_f16_e32 v67, v54, v67
	v_fma_f16 v68, v54, v62, -v68
	s_delay_alu instid0(VALU_DEP_2)
	v_fmac_f16_e32 v67, v53, v62
	s_clause 0x2
	global_load_b32 v62, v73, s[2:3] offset:12800
	global_load_b32 v70, v73, s[2:3] offset:14848
	;; [unrolled: 1-line block ×3, first 2 shown]
	ds_load_2addr_stride64_b32 v[53:54], v73 offset0:50 offset1:58
	s_wait_dscnt 0x0
	v_lshrrev_b32_e32 v187, 16, v53
	s_wait_loadcnt 0x2
	v_lshrrev_b32_e32 v72, 16, v62
	s_delay_alu instid0(VALU_DEP_1) | instskip(NEXT) | instid1(VALU_DEP_3)
	v_mul_f16_e64 v188, v53, v72
	v_mul_f16_e64 v72, v187, v72
	s_delay_alu instid0(VALU_DEP_2) | instskip(NEXT) | instid1(VALU_DEP_2)
	v_fmac_f16_e64 v188, v187, v62
	v_fma_f16 v62, v53, v62, -v72
	v_lshrrev_b32_e32 v53, 16, v54
	s_wait_loadcnt 0x1
	v_lshrrev_b32_e32 v72, 16, v70
	s_delay_alu instid0(VALU_DEP_1) | instskip(SKIP_1) | instid1(VALU_DEP_2)
	v_mul_f16_e64 v187, v53, v72
	v_mul_f16_e32 v72, v54, v72
	v_fma_f16 v187, v54, v70, -v187
	s_delay_alu instid0(VALU_DEP_2)
	v_fmac_f16_e32 v72, v53, v70
	s_clause 0x3
	global_load_b32 v70, v73, s[2:3] offset:34304
	global_load_b32 v189, v73, s[2:3] offset:36352
	;; [unrolled: 1-line block ×4, first 2 shown]
	ds_load_2addr_stride64_b32 v[53:54], v73 offset0:134 offset1:142
	ds_store_2addr_stride64_b32 v73, v50, v59 offset1:8
	v_pack_b32_f16 v50, v55, v69
	v_pack_b32_f16 v55, v68, v67
	ds_store_2addr_stride64_b32 v73, v50, v55 offset0:84 offset1:92
	v_pack_b32_f16 v50, v62, v188
	v_pack_b32_f16 v55, v187, v72
	ds_store_2addr_stride64_b32 v73, v50, v55 offset0:50 offset1:58
	s_wait_dscnt 0x3
	v_lshrrev_b32_e32 v193, 16, v53
	s_wait_loadcnt 0x3
	v_lshrrev_b32_e32 v192, 16, v70
	s_delay_alu instid0(VALU_DEP_1) | instskip(NEXT) | instid1(VALU_DEP_3)
	v_mul_f16_e64 v194, v53, v192
	v_mul_f16_e64 v192, v193, v192
	s_delay_alu instid0(VALU_DEP_2) | instskip(NEXT) | instid1(VALU_DEP_2)
	v_fmac_f16_e64 v194, v193, v70
	v_fma_f16 v70, v53, v70, -v192
	v_lshrrev_b32_e32 v53, 16, v54
	s_wait_loadcnt 0x2
	v_lshrrev_b32_e32 v192, 16, v189
	s_delay_alu instid0(VALU_DEP_3) | instskip(NEXT) | instid1(VALU_DEP_2)
	v_pack_b32_f16 v50, v70, v194
	v_mul_f16_e64 v193, v53, v192
	v_mul_f16_e64 v192, v54, v192
	s_delay_alu instid0(VALU_DEP_2) | instskip(NEXT) | instid1(VALU_DEP_2)
	v_fma_f16 v193, v54, v189, -v193
	v_fmac_f16_e64 v192, v53, v189
	ds_load_2addr_stride64_b32 v[53:54], v73 offset0:16 offset1:24
	v_lshrrev_b32_e32 v189, 16, v56
	v_pack_b32_f16 v55, v193, v192
	ds_store_2addr_stride64_b32 v73, v50, v55 offset0:134 offset1:142
	s_wait_dscnt 0x1
	v_lshrrev_b32_e32 v195, 16, v53
	v_mul_f16_e64 v196, v53, v189
	s_delay_alu instid0(VALU_DEP_2) | instskip(NEXT) | instid1(VALU_DEP_2)
	v_mul_f16_e64 v189, v195, v189
	v_fmac_f16_e64 v196, v195, v56
	s_delay_alu instid0(VALU_DEP_2) | instskip(SKIP_2) | instid1(VALU_DEP_3)
	v_fma_f16 v56, v53, v56, -v189
	v_lshrrev_b32_e32 v53, 16, v54
	v_lshrrev_b32_e32 v189, 16, v57
	v_pack_b32_f16 v50, v56, v196
	s_delay_alu instid0(VALU_DEP_2) | instskip(SKIP_1) | instid1(VALU_DEP_2)
	v_mul_f16_e64 v195, v53, v189
	v_mul_f16_e64 v189, v54, v189
	v_fma_f16 v195, v54, v57, -v195
	s_delay_alu instid0(VALU_DEP_2)
	v_fmac_f16_e64 v189, v53, v57
	ds_load_2addr_stride64_b32 v[53:54], v73 offset0:100 offset1:108
	v_lshrrev_b32_e32 v57, 16, v63
	v_pack_b32_f16 v55, v195, v189
	ds_store_2addr_stride64_b32 v73, v50, v55 offset0:16 offset1:24
	s_wait_dscnt 0x1
	v_lshrrev_b32_e32 v197, 16, v53
	v_mul_f16_e64 v198, v53, v57
	s_delay_alu instid0(VALU_DEP_2) | instskip(NEXT) | instid1(VALU_DEP_2)
	v_mul_f16_e64 v57, v197, v57
	v_fmac_f16_e64 v198, v197, v63
	s_delay_alu instid0(VALU_DEP_2) | instskip(SKIP_2) | instid1(VALU_DEP_3)
	v_fma_f16 v57, v53, v63, -v57
	v_lshrrev_b32_e32 v53, 16, v54
	v_lshrrev_b32_e32 v63, 16, v64
	v_pack_b32_f16 v50, v57, v198
	s_delay_alu instid0(VALU_DEP_2) | instskip(SKIP_1) | instid1(VALU_DEP_2)
	v_mul_f16_e64 v197, v53, v63
	v_mul_f16_e32 v63, v54, v63
	v_fma_f16 v197, v54, v64, -v197
	s_delay_alu instid0(VALU_DEP_2)
	v_fmac_f16_e32 v63, v53, v64
	ds_load_2addr_stride64_b32 v[53:54], v73 offset0:32 offset1:42
	v_lshrrev_b32_e32 v64, 16, v71
	v_pack_b32_f16 v55, v197, v63
	ds_store_2addr_stride64_b32 v73, v50, v55 offset0:100 offset1:108
	s_wait_dscnt 0x1
	v_lshrrev_b32_e32 v199, 16, v54
	v_mul_f16_e64 v200, v54, v64
	s_delay_alu instid0(VALU_DEP_2) | instskip(NEXT) | instid1(VALU_DEP_2)
	v_mul_f16_e64 v64, v199, v64
	v_fmac_f16_e64 v200, v199, v71
	s_delay_alu instid0(VALU_DEP_2) | instskip(SKIP_2) | instid1(VALU_DEP_3)
	v_fma_f16 v64, v54, v71, -v64
	v_lshrrev_b32_e32 v54, 16, v53
	v_lshrrev_b32_e32 v71, 16, v58
	v_pack_b32_f16 v50, v64, v200
	s_delay_alu instid0(VALU_DEP_2) | instskip(SKIP_1) | instid1(VALU_DEP_2)
	v_mul_f16_e64 v199, v54, v71
	v_mul_f16_e32 v71, v53, v71
	v_fma_f16 v199, v53, v58, -v199
	s_delay_alu instid0(VALU_DEP_2)
	v_fmac_f16_e32 v71, v54, v58
	global_load_b32 v58, v73, s[2:3] offset:16896
	ds_load_2addr_stride64_b32 v[53:54], v73 offset0:66 offset1:74
	v_pack_b32_f16 v55, v199, v71
	ds_store_2addr_stride64_b32 v73, v55, v50 offset0:32 offset1:42
	s_wait_dscnt 0x1
	v_lshrrev_b32_e32 v202, 16, v53
	s_wait_loadcnt 0x0
	v_lshrrev_b32_e32 v201, 16, v58
	s_delay_alu instid0(VALU_DEP_1) | instskip(NEXT) | instid1(VALU_DEP_3)
	v_mul_f16_e64 v203, v53, v201
	v_mul_f16_e64 v201, v202, v201
	s_delay_alu instid0(VALU_DEP_2) | instskip(NEXT) | instid1(VALU_DEP_2)
	v_fmac_f16_e64 v203, v202, v58
	v_fma_f16 v58, v53, v58, -v201
	v_lshrrev_b32_e32 v53, 16, v54
	v_lshrrev_b32_e32 v201, 16, v66
	s_delay_alu instid0(VALU_DEP_3) | instskip(NEXT) | instid1(VALU_DEP_2)
	v_pack_b32_f16 v50, v58, v203
	v_mul_f16_e64 v202, v53, v201
	v_mul_f16_e64 v201, v54, v201
	s_delay_alu instid0(VALU_DEP_2) | instskip(NEXT) | instid1(VALU_DEP_2)
	v_fma_f16 v202, v54, v66, -v202
	v_fmac_f16_e64 v201, v53, v66
	global_load_b32 v66, v73, s[2:3] offset:32256
	ds_load_2addr_stride64_b32 v[53:54], v73 offset0:116 offset1:126
	v_pack_b32_f16 v55, v202, v201
	ds_store_2addr_stride64_b32 v73, v50, v55 offset0:66 offset1:74
	s_wait_dscnt 0x1
	v_lshrrev_b32_e32 v205, 16, v54
	s_wait_loadcnt 0x0
	v_lshrrev_b32_e32 v204, 16, v66
	s_delay_alu instid0(VALU_DEP_1) | instskip(NEXT) | instid1(VALU_DEP_3)
	v_mul_f16_e64 v206, v54, v204
	v_mul_f16_e64 v204, v205, v204
	s_delay_alu instid0(VALU_DEP_2) | instskip(NEXT) | instid1(VALU_DEP_2)
	v_fmac_f16_e64 v206, v205, v66
	v_fma_f16 v66, v54, v66, -v204
	v_lshrrev_b32_e32 v54, 16, v53
	v_lshrrev_b32_e32 v204, 16, v65
	s_delay_alu instid0(VALU_DEP_3) | instskip(NEXT) | instid1(VALU_DEP_2)
	v_pack_b32_f16 v50, v66, v206
	v_mul_f16_e64 v205, v54, v204
	v_mul_f16_e64 v204, v53, v204
	s_delay_alu instid0(VALU_DEP_2) | instskip(NEXT) | instid1(VALU_DEP_2)
	v_fma_f16 v205, v53, v65, -v205
	v_fmac_f16_e64 v204, v54, v65
	ds_load_2addr_stride64_b32 v[53:54], v73 offset0:150 offset1:158
	v_lshrrev_b32_e32 v65, 16, v190
	v_pack_b32_f16 v55, v205, v204
	ds_store_2addr_stride64_b32 v73, v55, v50 offset0:116 offset1:126
	s_wait_dscnt 0x1
	v_lshrrev_b32_e32 v207, 16, v53
	v_mul_f16_e64 v208, v53, v65
	s_delay_alu instid0(VALU_DEP_2) | instskip(NEXT) | instid1(VALU_DEP_2)
	v_mul_f16_e64 v65, v207, v65
	v_fmac_f16_e64 v208, v207, v190
	s_delay_alu instid0(VALU_DEP_2) | instskip(SKIP_2) | instid1(VALU_DEP_3)
	v_fma_f16 v53, v53, v190, -v65
	v_lshrrev_b32_e32 v65, 16, v54
	v_lshrrev_b32_e32 v190, 16, v191
	v_pack_b32_f16 v50, v53, v208
	s_delay_alu instid0(VALU_DEP_2) | instskip(SKIP_1) | instid1(VALU_DEP_2)
	v_mul_f16_e64 v207, v65, v190
	v_mul_f16_e64 v190, v54, v190
	v_fma_f16 v54, v54, v191, -v207
	s_delay_alu instid0(VALU_DEP_2) | instskip(NEXT) | instid1(VALU_DEP_1)
	v_fmac_f16_e64 v190, v65, v191
	v_pack_b32_f16 v53, v54, v190
	ds_store_2addr_stride64_b32 v73, v50, v53 offset0:150 offset1:158
	s_and_saveexec_b32 s10, vcc_lo
	s_cbranch_execz .LBB0_19
; %bb.18:
	s_wait_alu 0xfffe
	v_add_co_u32 v53, s2, s2, v73
	s_wait_alu 0xf1ff
	v_add_co_ci_u32_e64 v54, null, s3, 0, s2
	s_clause 0x3
	global_load_b32 v50, v[53:54], off offset:10240
	global_load_b32 v57, v[53:54], off offset:20992
	;; [unrolled: 1-line block ×4, first 2 shown]
	ds_load_2addr_stride64_b32 v[53:54], v73 offset0:40 offset1:82
	ds_load_2addr_stride64_b32 v[55:56], v73 offset0:124 offset1:166
	s_wait_dscnt 0x1
	v_lshrrev_b32_e32 v60, 16, v53
	v_lshrrev_b32_e32 v61, 16, v54
	s_wait_dscnt 0x0
	v_lshrrev_b32_e32 v62, 16, v55
	v_lshrrev_b32_e32 v64, 16, v56
	s_wait_loadcnt 0x3
	v_lshrrev_b32_e32 v63, 16, v50
	s_wait_loadcnt 0x2
	;; [unrolled: 2-line block ×4, first 2 shown]
	v_lshrrev_b32_e32 v67, 16, v59
	v_mul_f16_e32 v68, v60, v63
	v_mul_f16_e32 v63, v53, v63
	;; [unrolled: 1-line block ×8, first 2 shown]
	v_fma_f16 v53, v53, v50, -v68
	v_fmac_f16_e32 v63, v60, v50
	v_fma_f16 v50, v54, v57, -v69
	v_fmac_f16_e32 v65, v61, v57
	;; [unrolled: 2-line block ×4, first 2 shown]
	v_pack_b32_f16 v53, v53, v63
	v_pack_b32_f16 v50, v50, v65
	;; [unrolled: 1-line block ×3, first 2 shown]
	s_delay_alu instid0(VALU_DEP_4)
	v_pack_b32_f16 v55, v55, v67
	ds_store_2addr_stride64_b32 v73, v53, v50 offset0:40 offset1:82
	ds_store_2addr_stride64_b32 v73, v54, v55 offset0:124 offset1:166
.LBB0_19:
	s_wait_alu 0xfffe
	s_or_b32 exec_lo, exec_lo, s10
	global_wb scope:SCOPE_SE
	s_wait_dscnt 0x0
	s_barrier_signal -1
	s_barrier_wait -1
	global_inv scope:SCOPE_SE
	ds_load_2addr_stride64_b32 v[59:60], v73 offset1:8
	ds_load_2addr_stride64_b32 v[61:62], v73 offset0:32 offset1:42
	ds_load_2addr_stride64_b32 v[71:72], v73 offset0:84 offset1:92
	ds_load_2addr_stride64_b32 v[63:64], v73 offset0:116 offset1:126
	ds_load_2addr_stride64_b32 v[57:58], v73 offset0:50 offset1:58
	ds_load_2addr_stride64_b32 v[69:70], v73 offset0:134 offset1:142
	ds_load_2addr_stride64_b32 v[53:54], v73 offset0:16 offset1:24
	ds_load_2addr_stride64_b32 v[67:68], v73 offset0:100 offset1:108
	ds_load_2addr_stride64_b32 v[55:56], v73 offset0:66 offset1:74
	ds_load_2addr_stride64_b32 v[65:66], v73 offset0:150 offset1:158
	s_and_saveexec_b32 s2, vcc_lo
	s_cbranch_execz .LBB0_21
; %bb.20:
	ds_load_2addr_stride64_b32 v[50:51], v73 offset0:40 offset1:82
	ds_load_2addr_stride64_b32 v[22:23], v73 offset0:124 offset1:166
	s_wait_dscnt 0x1
	v_lshrrev_b32_e32 v21, 16, v50
	v_lshrrev_b32_e32 v185, 16, v51
	s_wait_dscnt 0x0
	v_lshrrev_b32_e32 v186, 16, v22
	v_lshrrev_b32_e32 v24, 16, v23
	v_mov_b32_e32 v52, v50
.LBB0_21:
	s_wait_alu 0xfffe
	s_or_b32 exec_lo, exec_lo, s2
	s_wait_dscnt 0x6
	v_pk_add_f16 v187, v62, v64 neg_lo:[0,1] neg_hi:[0,1]
	v_pk_add_f16 v71, v59, v71 neg_lo:[0,1] neg_hi:[0,1]
	s_wait_dscnt 0x4
	v_pk_add_f16 v192, v58, v70 neg_lo:[0,1] neg_hi:[0,1]
	s_wait_dscnt 0x2
	;; [unrolled: 2-line block ×3, first 2 shown]
	v_pk_add_f16 v197, v55, v65 neg_lo:[0,1] neg_hi:[0,1]
	v_lshrrev_b32_e32 v50, 16, v187
	v_lshrrev_b32_e32 v64, 16, v71
	v_pk_add_f16 v198, v54, v68 neg_lo:[0,1] neg_hi:[0,1]
	v_pk_add_f16 v63, v61, v63 neg_lo:[0,1] neg_hi:[0,1]
	v_sub_f16_e32 v22, v52, v22
	v_add_f16_e64 v190, v71, v50
	v_sub_f16_e64 v191, v64, v187
	v_lshrrev_b32_e32 v50, 16, v192
	v_lshrrev_b32_e32 v65, 16, v198
	v_pk_fma_f16 v208, v61, 2.0, v63 op_sel_hi:[1,0,1] neg_lo:[0,0,1] neg_hi:[0,0,1]
	v_sub_f16_e64 v68, v21, v186
	v_fma_f16 v196, v64, 2.0, -v191
	v_lshrrev_b32_e32 v64, 16, v188
	v_add_f16_e64 v200, v188, v50
	v_lshrrev_b32_e32 v50, 16, v197
	v_sub_f16_e64 v24, v185, v24
	v_pk_add_f16 v69, v57, v69 neg_lo:[0,1] neg_hi:[0,1]
	v_sub_f16_e64 v201, v64, v192
	v_sub_f16_e64 v204, v65, v197
	v_add_f16_e64 v203, v198, v50
	v_pk_add_f16 v50, v56, v66 neg_lo:[0,1] neg_hi:[0,1]
	v_lshrrev_b32_e32 v66, 16, v63
	v_fma_f16 v205, v64, 2.0, -v201
	v_sub_f16_e32 v64, v51, v23
	v_fma_f16 v70, v52, 2.0, -v22
	v_lshrrev_b32_e32 v61, 16, v50
	v_fma_f16 v21, v21, 2.0, -v68
	v_pk_add_f16 v72, v60, v72 neg_lo:[0,1] neg_hi:[0,1]
	v_fma_f16 v23, v51, 2.0, -v64
	v_fma_f16 v51, v185, 2.0, -v24
	v_add_f16_e32 v52, v63, v61
	v_lshrrev_b32_e32 v67, 16, v69
	v_fma_f16 v207, v65, 2.0, -v204
	v_sub_f16_e32 v65, v66, v50
	v_pk_fma_f16 v56, v56, 2.0, v50 op_sel_hi:[1,0,1] neg_lo:[0,0,1] neg_hi:[0,0,1]
	v_fma_f16 v61, v63, 2.0, -v52
	v_sub_f16_e32 v63, v21, v51
	v_add_f16_e64 v193, v72, v67
	v_sub_f16_e32 v50, v70, v23
	v_fma_f16 v67, v66, 2.0, -v65
	v_add_f16_e32 v51, v24, v22
	v_fma_f16 v66, v21, 2.0, -v63
	v_pk_fma_f16 v21, v59, 2.0, v71 op_sel_hi:[1,0,1] neg_lo:[0,0,1] neg_hi:[0,0,1]
	v_pk_fma_f16 v24, v62, 2.0, v187 op_sel_hi:[1,0,1] neg_lo:[0,0,1] neg_hi:[0,0,1]
	v_lshrrev_b32_e32 v189, 16, v72
	v_pk_add_f16 v23, v208, v56 neg_lo:[0,1] neg_hi:[0,1]
	v_fma_f16 v56, v70, 2.0, -v50
	v_sub_f16_e32 v64, v68, v64
	v_pk_add_f16 v70, v21, v24 neg_lo:[0,1] neg_hi:[0,1]
	v_fma_f16 v59, v22, 2.0, -v51
	v_pk_fma_f16 v22, v60, 2.0, v72 op_sel_hi:[1,0,1] neg_lo:[0,0,1] neg_hi:[0,0,1]
	v_pk_fma_f16 v24, v57, 2.0, v69 op_sel_hi:[1,0,1] neg_lo:[0,0,1] neg_hi:[0,0,1]
	v_sub_f16_e64 v194, v189, v69
	v_fma_f16 v62, v68, 2.0, -v64
	v_pk_fma_f16 v68, v21, 2.0, v70 op_sel_hi:[1,0,1] neg_lo:[0,0,1] neg_hi:[0,0,1]
	v_pk_fma_f16 v21, v53, 2.0, v188 op_sel_hi:[1,0,1] neg_lo:[0,0,1] neg_hi:[0,0,1]
	;; [unrolled: 1-line block ×3, first 2 shown]
	v_fma_f16 v195, v71, 2.0, -v190
	v_pk_add_f16 v187, v22, v24 neg_lo:[0,1] neg_hi:[0,1]
	v_pk_fma_f16 v24, v54, 2.0, v198 op_sel_hi:[1,0,1] neg_lo:[0,0,1] neg_hi:[0,0,1]
	v_pk_fma_f16 v54, v55, 2.0, v197 op_sel_hi:[1,0,1] neg_lo:[0,0,1] neg_hi:[0,0,1]
	v_fma_f16 v199, v72, 2.0, -v193
	v_fma_f16 v189, v189, 2.0, -v194
	v_pack_b32_f16 v71, v190, v191
	v_pk_add_f16 v191, v21, v53 neg_lo:[0,1] neg_hi:[0,1]
	v_fma_f16 v202, v188, 2.0, -v200
	v_fma_f16 v206, v198, 2.0, -v203
	v_pack_b32_f16 v69, v195, v196
	v_pk_add_f16 v195, v24, v54 neg_lo:[0,1] neg_hi:[0,1]
	v_pack_b32_f16 v186, v199, v189
	v_pk_fma_f16 v189, v21, 2.0, v191 op_sel_hi:[1,0,1] neg_lo:[0,0,1] neg_hi:[0,0,1]
	v_pk_fma_f16 v21, v208, 2.0, v23 op_sel_hi:[1,0,1] neg_lo:[0,0,1] neg_hi:[0,0,1]
	;; [unrolled: 1-line block ×3, first 2 shown]
	v_pack_b32_f16 v188, v193, v194
	v_pack_b32_f16 v192, v200, v201
	;; [unrolled: 1-line block ×3, first 2 shown]
	v_pk_fma_f16 v193, v24, 2.0, v195 op_sel_hi:[1,0,1] neg_lo:[0,0,1] neg_hi:[0,0,1]
	v_pack_b32_f16 v196, v203, v204
	v_pack_b32_f16 v194, v206, v207
	;; [unrolled: 1-line block ×4, first 2 shown]
	global_wb scope:SCOPE_SE
	s_barrier_signal -1
	s_barrier_wait -1
	global_inv scope:SCOPE_SE
	ds_store_b128 v118, v[68:71]
	ds_store_b128 v122, v[185:188]
	;; [unrolled: 1-line block ×5, first 2 shown]
	s_and_saveexec_b32 s2, vcc_lo
	s_cbranch_execz .LBB0_23
; %bb.22:
	v_perm_b32 v71, v64, v51, 0x5040100
	v_perm_b32 v70, v63, v50, 0x5040100
	;; [unrolled: 1-line block ×4, first 2 shown]
	ds_store_b128 v127, v[68:71]
.LBB0_23:
	s_wait_alu 0xfffe
	s_or_b32 exec_lo, exec_lo, s2
	global_wb scope:SCOPE_SE
	s_wait_dscnt 0x0
	s_barrier_signal -1
	s_barrier_wait -1
	global_inv scope:SCOPE_SE
	ds_load_b32 v127, v73 offset:2688
	ds_load_b32 v126, v73 offset:5376
	;; [unrolled: 1-line block ×14, first 2 shown]
	ds_load_b32 v24, v73
	ds_load_b32 v53, v73 offset:40320
	v_lshrrev_b32_e32 v22, 16, v21
	s_and_saveexec_b32 s2, s0
	s_cbranch_execz .LBB0_25
; %bb.24:
	ds_load_b32 v21, v73 offset:2048
	ds_load_b32 v61, v73 offset:4736
	;; [unrolled: 1-line block ×16, first 2 shown]
	s_wait_dscnt 0xf
	v_lshrrev_b32_e32 v22, 16, v21
	s_wait_dscnt 0xe
	v_lshrrev_b32_e32 v67, 16, v61
	;; [unrolled: 2-line block ×15, first 2 shown]
.LBB0_25:
	s_wait_alu 0xfffe
	s_or_b32 exec_lo, exec_lo, s2
	s_wait_dscnt 0xf
	v_lshrrev_b32_e32 v130, 16, v127
	s_wait_dscnt 0xe
	v_lshrrev_b32_e32 v185, 16, v126
	;; [unrolled: 2-line block ×3, first 2 shown]
	v_mul_f16_e64 v198, v136, v127
	s_wait_dscnt 0xc
	v_lshrrev_b32_e32 v187, 16, v118
	v_mul_f16_e64 v197, v136, v130
	v_mul_f16_e64 v201, v135, v185
	s_wait_dscnt 0xb
	v_lshrrev_b32_e32 v188, 16, v72
	s_wait_dscnt 0xa
	v_lshrrev_b32_e32 v189, 16, v71
	v_mul_f16_e64 v202, v133, v187
	v_fmac_f16_e64 v197, v13, v127
	v_fma_f16 v127, v13, v130, -v198
	v_mul_f16_e64 v198, v134, v186
	v_mul_f16_e64 v130, v135, v126
	v_fmac_f16_e64 v201, v14, v126
	v_mul_f16_e64 v126, v134, v122
	s_wait_dscnt 0x9
	v_lshrrev_b32_e32 v190, 16, v70
	v_fmac_f16_e64 v198, v15, v122
	v_mul_f16_e64 v122, v133, v118
	s_wait_dscnt 0x8
	v_lshrrev_b32_e32 v191, 16, v69
	s_wait_dscnt 0x7
	v_lshrrev_b32_e32 v192, 16, v68
	v_fma_f16 v130, v14, v185, -v130
	v_fma_f16 v126, v15, v186, -v126
	v_fmac_f16_e64 v202, v16, v118
	v_mul_f16_e64 v118, v132, v188
	v_mul_f16_e64 v185, v132, v72
	v_fma_f16 v122, v16, v187, -v122
	v_mul_f16_e64 v186, v131, v189
	v_mul_f16_e64 v187, v131, v71
	s_wait_dscnt 0x6
	v_lshrrev_b32_e32 v193, 16, v60
	v_fmac_f16_e32 v118, v9, v72
	v_fma_f16 v72, v9, v188, -v185
	v_mul_f16_e64 v185, v129, v190
	v_fmac_f16_e64 v186, v10, v71
	v_fma_f16 v71, v10, v189, -v187
	v_mul_f16_e64 v187, v129, v70
	v_mul_f16_e64 v188, v125, v191
	;; [unrolled: 1-line block ×3, first 2 shown]
	s_wait_dscnt 0x5
	v_lshrrev_b32_e32 v194, 16, v58
	s_wait_dscnt 0x4
	v_lshrrev_b32_e32 v195, 16, v57
	;; [unrolled: 2-line block ×3, first 2 shown]
	v_fmac_f16_e64 v185, v11, v70
	v_mul_f16_e32 v70, v125, v69
	v_fma_f16 v187, v11, v190, -v187
	v_fmac_f16_e64 v188, v12, v69
	v_mul_f16_e32 v69, v124, v68
	v_fmac_f16_e64 v189, v5, v68
	v_mul_f16_e64 v68, v123, v193
	v_mul_f16_e64 v190, v123, v60
	s_wait_dscnt 0x2
	v_lshrrev_b32_e32 v199, 16, v54
	v_fma_f16 v70, v12, v191, -v70
	v_fma_f16 v69, v5, v192, -v69
	v_mul_f16_e64 v191, v121, v194
	v_mul_f16_e64 v192, v121, v58
	v_fmac_f16_e32 v68, v6, v60
	v_fma_f16 v60, v6, v193, -v190
	v_mul_f16_e64 v190, v120, v195
	v_mul_f16_e64 v193, v119, v196
	s_wait_dscnt 0x0
	v_lshrrev_b32_e32 v200, 16, v53
	v_fmac_f16_e64 v191, v7, v58
	v_fma_f16 v58, v7, v194, -v192
	v_mul_f16_e64 v192, v120, v57
	v_fmac_f16_e64 v190, v8, v57
	v_mul_f16_e32 v57, v119, v55
	v_mul_f16_e64 v194, v117, v199
	v_fmac_f16_e64 v193, v25, v55
	v_mul_f16_e32 v55, v117, v54
	v_fma_f16 v192, v8, v195, -v192
	v_fma_f16 v57, v25, v196, -v57
	v_fmac_f16_e64 v194, v26, v54
	v_mul_f16_e64 v54, v116, v200
	v_mul_f16_e64 v195, v116, v53
	v_fma_f16 v55, v26, v199, -v55
	v_lshrrev_b32_e32 v196, 16, v23
	v_mul_f16_e64 v199, v136, v67
	v_fmac_f16_e32 v54, v27, v53
	v_fma_f16 v53, v27, v200, -v195
	v_mul_f16_e64 v136, v136, v61
	v_mul_f16_e64 v195, v135, v196
	v_fmac_f16_e64 v199, v13, v61
	v_mul_f16_e64 v61, v135, v23
	v_mul_f16_e64 v135, v134, v65
	v_lshrrev_b32_e32 v128, 16, v24
	v_fmac_f16_e64 v195, v14, v23
	v_mul_f16_e64 v23, v134, v52
	v_fma_f16 v14, v14, v196, -v61
	v_fmac_f16_e64 v135, v15, v52
	v_mul_f16_e64 v52, v133, v66
	v_mul_f16_e64 v61, v133, v56
	v_fma_f16 v15, v15, v65, -v23
	v_mul_f16_e64 v23, v132, v62
	v_mul_f16_e64 v65, v132, v59
	v_fmac_f16_e32 v52, v16, v56
	v_fma_f16 v16, v16, v66, -v61
	v_mul_f16_e64 v56, v131, v63
	v_mul_f16_e64 v61, v129, v64
	v_fmac_f16_e32 v23, v9, v59
	v_fma_f16 v9, v9, v62, -v65
	v_mul_f16_e64 v59, v131, v50
	v_fmac_f16_e32 v56, v10, v50
	v_mul_f16_e64 v50, v129, v51
	v_mul_f16_e64 v62, v125, v157
	v_fmac_f16_e32 v61, v11, v51
	v_mul_f16_e64 v51, v125, v150
	v_fma_f16 v10, v10, v63, -v59
	v_fma_f16 v11, v11, v64, -v50
	v_fmac_f16_e64 v62, v12, v150
	v_mul_f16_e64 v50, v124, v156
	v_mul_f16_e64 v59, v124, v149
	v_fma_f16 v12, v12, v157, -v51
	v_mul_f16_e64 v51, v123, v158
	v_mul_f16_e64 v63, v123, v151
	v_fmac_f16_e64 v50, v5, v149
	v_fma_f16 v5, v5, v156, -v59
	v_mul_f16_e64 v59, v121, v160
	v_fmac_f16_e64 v51, v6, v151
	v_fma_f16 v6, v6, v158, -v63
	v_mul_f16_e64 v63, v121, v152
	v_mul_f16_e64 v64, v120, v162
	v_fmac_f16_e64 v59, v7, v152
	v_mul_f16_e64 v65, v120, v153
	v_mul_f16_e64 v66, v119, v161
	v_fma_f16 v7, v7, v160, -v63
	v_mul_f16_e64 v63, v119, v154
	v_fma_f16 v13, v13, v67, -v136
	v_fmac_f16_e64 v64, v8, v153
	v_fma_f16 v8, v8, v162, -v65
	v_fmac_f16_e64 v66, v25, v154
	v_mul_f16_e64 v65, v117, v163
	v_mul_f16_e64 v67, v117, v155
	v_fma_f16 v25, v25, v161, -v63
	v_mul_f16_e64 v63, v116, v165
	v_mul_f16_e64 v116, v116, v159
	v_sub_f16_e64 v70, v128, v70
	v_sub_f16_e64 v117, v122, v192
	;; [unrolled: 1-line block ×3, first 2 shown]
	v_sub_f16_e32 v55, v71, v55
	v_fmac_f16_e64 v65, v26, v155
	v_fma_f16 v26, v26, v163, -v67
	v_sub_f16_e64 v67, v24, v188
	v_fmac_f16_e64 v63, v27, v159
	v_fma_f16 v27, v27, v165, -v116
	v_sub_f16_e64 v116, v202, v190
	v_sub_f16_e64 v68, v201, v68
	v_fma_f16 v119, v128, 2.0, -v70
	v_fma_f16 v121, v122, 2.0, -v117
	v_sub_f16_e64 v123, v186, v194
	v_fma_f16 v124, v130, 2.0, -v60
	v_fma_f16 v71, v71, 2.0, -v55
	;; [unrolled: 1-line block ×3, first 2 shown]
	v_sub_f16_e64 v125, v197, v189
	v_fma_f16 v128, v186, 2.0, -v123
	v_sub_f16_e64 v129, v118, v193
	v_sub_f16_e64 v131, v198, v191
	;; [unrolled: 1-line block ×3, first 2 shown]
	v_sub_f16_e32 v121, v119, v121
	v_add_f16_e32 v117, v67, v117
	v_sub_f16_e32 v116, v70, v116
	v_sub_f16_e32 v71, v124, v71
	v_add_f16_e32 v55, v68, v55
	v_sub_f16_e32 v123, v60, v123
	v_fma_f16 v24, v24, 2.0, -v67
	v_fma_f16 v122, v201, 2.0, -v68
	v_sub_f16_e32 v69, v127, v69
	v_fma_f16 v130, v197, 2.0, -v125
	v_sub_f16_e32 v57, v72, v57
	;; [unrolled: 2-line block ×3, first 2 shown]
	v_fma_f16 v132, v198, 2.0, -v131
	v_sub_f16_e64 v53, v187, v53
	v_fma_f16 v133, v185, 2.0, -v54
	v_fma_f16 v119, v119, 2.0, -v121
	v_fma_f16 v67, v67, 2.0, -v117
	v_fma_f16 v70, v70, 2.0, -v116
	v_fma_f16 v124, v124, 2.0, -v71
	v_fma_f16 v68, v68, 2.0, -v55
	v_fma_f16 v60, v60, 2.0, -v123
	v_fma_f16 v127, v127, 2.0, -v69
	v_fma_f16 v72, v72, 2.0, -v57
	v_fma_f16 v126, v126, 2.0, -v58
	v_fma_f16 v134, v187, 2.0, -v53
	v_sub_f16_e64 v128, v122, v128
	v_sub_f16_e64 v118, v130, v118
	v_add_f16_e32 v57, v125, v57
	v_sub_f16_e64 v129, v69, v129
	v_sub_f16_e64 v133, v132, v133
	v_add_f16_e64 v53, v131, v53
	v_sub_f16_e32 v54, v58, v54
	v_fma_f16 v136, 0xb9a8, v68, v67
	v_sub_f16_e32 v124, v119, v124
	v_fma_f16 v149, 0xb9a8, v60, v70
	v_fma_f16 v122, v122, 2.0, -v128
	v_sub_f16_e32 v72, v127, v72
	v_fma_f16 v130, v130, 2.0, -v118
	v_sub_f16_e64 v134, v126, v134
	v_fma_f16 v125, v125, 2.0, -v57
	v_fma_f16 v69, v69, 2.0, -v129
	;; [unrolled: 1-line block ×4, first 2 shown]
	v_fmac_f16_e64 v136, 0x39a8, v60
	v_fma_f16 v58, v58, 2.0, -v54
	v_fma_f16 v60, v119, 2.0, -v124
	v_fmac_f16_e64 v149, 0xb9a8, v68
	v_fmamk_f16 v68, v55, 0x39a8, v117
	v_sub_f16_e64 v119, v121, v128
	v_fma_f16 v128, 0x39a8, v123, v116
	v_sub_f16_e32 v120, v24, v120
	v_fma_f16 v127, v127, 2.0, -v72
	v_fma_f16 v126, v126, 2.0, -v134
	v_fmac_f16_e32 v68, 0x39a8, v123
	v_fmac_f16_e64 v128, 0xb9a8, v55
	v_fma_f16 v55, 0xb9a8, v131, v125
	v_sub_f16_e64 v123, v130, v132
	v_fma_f16 v132, 0xb9a8, v58, v69
	v_fma_f16 v24, v24, 2.0, -v120
	v_add_f16_e32 v71, v120, v71
	v_sub_f16_e32 v126, v127, v126
	v_fmac_f16_e32 v55, 0x39a8, v58
	v_fma_f16 v58, v116, 2.0, -v128
	v_fma_f16 v116, v130, 2.0, -v123
	v_fmac_f16_e64 v132, 0xb9a8, v131
	v_fma_f16 v130, 0x39a8, v53, v57
	v_add_f16_e64 v131, v118, v134
	v_fma_f16 v134, 0x39a8, v54, v129
	v_sub_f16_e32 v122, v24, v122
	v_fma_f16 v120, v120, 2.0, -v71
	v_fma_f16 v127, v127, 2.0, -v126
	v_sub_f16_e64 v133, v72, v133
	v_fmac_f16_e64 v130, 0x39a8, v54
	v_fma_f16 v54, v118, 2.0, -v131
	v_fmac_f16_e64 v134, 0xb9a8, v53
	v_fma_f16 v24, v24, 2.0, -v122
	v_fma_f16 v70, v70, 2.0, -v149
	;; [unrolled: 1-line block ×6, first 2 shown]
	v_sub_f16_e32 v57, v60, v127
	v_fma_f16 v127, v129, 2.0, -v134
	v_fma_f16 v151, 0xb9a8, v54, v120
	v_fma_f16 v67, v67, 2.0, -v136
	v_fma_f16 v117, v117, 2.0, -v68
	;; [unrolled: 1-line block ×3, first 2 shown]
	v_sub_f16_e32 v116, v24, v116
	v_fma_f16 v150, 0xbb64, v69, v70
	v_fma_f16 v152, 0xb9a8, v72, v121
	v_fmac_f16_e64 v151, 0x39a8, v72
	v_fmamk_f16 v72, v127, 0xb61f, v58
	v_fmamk_f16 v118, v125, 0xbb64, v67
	v_fma_f16 v129, v24, 2.0, -v116
	v_fmac_f16_e64 v150, 0xb61f, v125
	v_fmamk_f16 v125, v53, 0xb61f, v117
	v_fmac_f16_e32 v72, 0xbb64, v53
	v_sub_f16_e32 v24, v21, v62
	v_sub_f16_e32 v12, v22, v12
	;; [unrolled: 1-line block ×6, first 2 shown]
	v_sub_f16_e64 v51, v195, v51
	v_fma_f16 v52, v52, 2.0, -v53
	v_sub_f16_e32 v26, v10, v26
	v_fma_f16 v56, v56, 2.0, -v62
	v_sub_f16_e32 v53, v12, v53
	v_sub_f16_e32 v62, v6, v62
	v_fma_f16 v21, v21, 2.0, -v24
	v_fma_f16 v22, v22, 2.0, -v12
	;; [unrolled: 1-line block ×4, first 2 shown]
	v_sub_f16_e64 v50, v199, v50
	v_fma_f16 v10, v10, 2.0, -v26
	v_sub_f16_e32 v25, v9, v25
	v_sub_f16_e64 v59, v135, v59
	v_sub_f16_e32 v27, v11, v27
	v_add_f16_e32 v8, v8, v24
	v_fma_f16 v12, v12, 2.0, -v53
	v_add_f16_e32 v26, v26, v51
	v_fma_f16 v6, v6, 2.0, -v62
	v_fmac_f16_e32 v118, 0x361f, v69
	v_fmac_f16_e64 v152, 0xb9a8, v54
	v_fma_f16 v155, 0x3b64, v130, v68
	v_fma_f16 v54, v195, 2.0, -v51
	v_sub_f16_e32 v5, v13, v5
	v_sub_f16_e32 v64, v23, v66
	;; [unrolled: 1-line block ×4, first 2 shown]
	v_fma_f16 v9, v9, 2.0, -v25
	v_sub_f16_e32 v52, v21, v52
	v_fma_f16 v11, v11, 2.0, -v27
	v_fma_f16 v24, v24, 2.0, -v8
	v_sub_f16_e32 v10, v14, v10
	v_fma_f16 v51, v51, 2.0, -v26
	v_add_f16_e32 v25, v25, v50
	v_add_f16_e32 v27, v27, v59
	v_fmamk_f16 v69, v6, 0xb9a8, v12
	v_fma_f16 v153, v67, 2.0, -v118
	v_fmac_f16_e32 v125, 0x3b64, v127
	v_fma_f16 v127, 0x361f, v55, v136
	v_fma_f16 v154, 0x361f, v132, v149
	v_fma_f16 v156, 0x3b64, v134, v128
	v_fmac_f16_e64 v155, 0x361f, v134
	v_fma_f16 v65, v199, 2.0, -v50
	v_fma_f16 v23, v23, 2.0, -v64
	;; [unrolled: 1-line block ×4, first 2 shown]
	v_sub_f16_e32 v64, v5, v64
	v_fma_f16 v50, v50, 2.0, -v25
	v_sub_f16_e32 v63, v7, v63
	v_fmamk_f16 v67, v51, 0xb9a8, v24
	v_fma_f16 v59, v59, 2.0, -v27
	v_fmac_f16_e32 v69, 0xb9a8, v51
	v_add_f16_e64 v134, v10, v52
	v_fmac_f16_e64 v127, 0x3b64, v132
	v_fmac_f16_e64 v154, 0xbb64, v55
	v_fma_f16 v132, 0x39a8, v133, v119
	v_fma_f16 v13, v13, 2.0, -v5
	v_fma_f16 v15, v15, 2.0, -v7
	v_sub_f16_e32 v16, v22, v16
	v_fma_f16 v21, v21, 2.0, -v52
	v_sub_f16_e32 v56, v54, v56
	v_fma_f16 v14, v14, 2.0, -v10
	v_fma_f16 v5, v5, 2.0, -v64
	v_fmac_f16_e32 v67, 0x39a8, v6
	v_fma_f16 v6, v7, 2.0, -v63
	v_fma_f16 v10, v12, 2.0, -v69
	;; [unrolled: 1-line block ×3, first 2 shown]
	v_fmamk_f16 v52, v59, 0xb9a8, v50
	v_fma_f16 v55, 0x39a8, v131, v71
	v_fmac_f16_e64 v132, 0xb9a8, v131
	v_fma_f16 v131, v149, 2.0, -v154
	v_fma_f16 v22, v22, 2.0, -v16
	;; [unrolled: 1-line block ×3, first 2 shown]
	v_sub_f16_e32 v23, v65, v23
	v_sub_f16_e32 v9, v13, v9
	v_sub_f16_e32 v61, v66, v61
	v_sub_f16_e32 v11, v15, v11
	v_fma_f16 v149, 0xb9a8, v6, v5
	v_fmac_f16_e32 v52, 0x39a8, v6
	v_fmac_f16_e64 v55, 0x39a8, v133
	v_fmac_f16_e64 v156, 0xb61f, v130
	v_fma_f16 v130, v68, 2.0, -v155
	v_fma_f16 v65, v65, 2.0, -v23
	;; [unrolled: 1-line block ×5, first 2 shown]
	v_sub_f16_e32 v54, v21, v54
	v_sub_f16_e32 v68, v22, v14
	v_fma_f16 v24, v24, 2.0, -v67
	v_fma_f16 v133, 0x39a8, v26, v8
	v_fma_f16 v135, 0x39a8, v62, v53
	v_fmac_f16_e64 v149, 0xb9a8, v59
	v_fma_f16 v50, v50, 2.0, -v52
	v_fmamk_f16 v59, v27, 0x39a8, v25
	v_fma_f16 v157, 0x39a8, v63, v64
	v_fma_f16 v7, v21, 2.0, -v54
	v_fma_f16 v21, v22, 2.0, -v68
	v_sub_f16_e32 v56, v16, v56
	v_fmac_f16_e64 v133, 0x39a8, v62
	v_fmac_f16_e64 v135, 0xb9a8, v26
	v_sub_f16_e32 v26, v65, v66
	v_sub_f16_e32 v66, v13, v15
	;; [unrolled: 1-line block ×3, first 2 shown]
	v_fma_f16 v22, v5, 2.0, -v149
	v_fmac_f16_e32 v59, 0x39a8, v63
	v_fmac_f16_e64 v157, 0xb9a8, v27
	v_fmamk_f16 v15, v50, 0xbb64, v24
	v_fma_f16 v51, v16, 2.0, -v56
	v_fma_f16 v8, v8, 2.0, -v133
	;; [unrolled: 1-line block ×5, first 2 shown]
	v_add_f16_e32 v11, v11, v23
	v_fma_f16 v9, v9, 2.0, -v61
	v_fma_f16 v25, v25, 2.0, -v59
	;; [unrolled: 1-line block ×3, first 2 shown]
	v_fmamk_f16 v16, v22, 0xbb64, v10
	v_fmac_f16_e32 v15, 0x361f, v22
	v_fma_f16 v63, v23, 2.0, -v11
	v_sub_f16_e32 v13, v7, v6
	v_sub_f16_e32 v14, v21, v14
	v_fmamk_f16 v22, v9, 0xb9a8, v51
	v_fmac_f16_e32 v16, 0xb61f, v50
	v_fmamk_f16 v23, v25, 0xb61f, v8
	v_fma_f16 v6, v24, 2.0, -v15
	v_fmamk_f16 v24, v27, 0xb61f, v53
	v_fma_f16 v50, 0x361f, v149, v69
	v_fma_f16 v62, v21, 2.0, -v14
	v_fmamk_f16 v21, v63, 0xb9a8, v12
	v_fmac_f16_e32 v22, 0xb9a8, v63
	v_fmac_f16_e32 v23, 0x3b64, v27
	;; [unrolled: 1-line block ×3, first 2 shown]
	v_add_f16_e32 v25, v54, v66
	v_fmamk_f16 v27, v52, 0x361f, v67
	v_fmac_f16_e32 v50, 0xbb64, v52
	v_fmamk_f16 v52, v61, 0x39a8, v56
	v_add_f16_e32 v126, v122, v126
	v_sub_f16_e32 v123, v124, v123
	v_fma_f16 v60, v60, 2.0, -v57
	v_fma_f16 v70, v70, 2.0, -v150
	v_fmac_f16_e32 v21, 0x39a8, v9
	v_fma_f16 v63, v51, 2.0, -v22
	v_fma_f16 v66, v53, 2.0, -v24
	;; [unrolled: 1-line block ×3, first 2 shown]
	v_fmac_f16_e64 v27, 0x3b64, v149
	v_fma_f16 v51, 0x39a8, v11, v134
	v_fma_f16 v53, 0x3b64, v59, v133
	;; [unrolled: 1-line block ×3, first 2 shown]
	v_fmac_f16_e32 v52, 0xb9a8, v11
	v_fma_f16 v120, v120, 2.0, -v151
	v_fma_f16 v121, v121, 2.0, -v152
	;; [unrolled: 1-line block ×11, first 2 shown]
	v_sub_f16_e32 v26, v68, v26
	v_fma_f16 v10, v67, 2.0, -v27
	v_fmac_f16_e32 v51, 0x39a8, v61
	v_fmac_f16_e64 v53, 0x361f, v157
	v_fmac_f16_e32 v54, 0xb61f, v59
	v_fma_f16 v67, v56, 2.0, -v52
	v_pack_b32_f16 v56, v129, v60
	v_pack_b32_f16 v59, v153, v70
	;; [unrolled: 1-line block ×6, first 2 shown]
	v_fma_f16 v5, v7, 2.0, -v13
	v_fma_f16 v7, v12, 2.0, -v21
	;; [unrolled: 1-line block ×8, first 2 shown]
	global_wb scope:SCOPE_SE
	s_barrier_signal -1
	s_barrier_wait -1
	global_inv scope:SCOPE_SE
	ds_store_2addr_b32 v141, v56, v59 offset1:4
	ds_store_2addr_b32 v141, v60, v58 offset0:8 offset1:12
	ds_store_2addr_b32 v141, v61, v70 offset0:16 offset1:20
	v_pack_b32_f16 v56, v71, v119
	v_pack_b32_f16 v58, v130, v128
	v_pack_b32_f16 v57, v116, v57
	v_pack_b32_f16 v59, v118, v150
	v_pack_b32_f16 v60, v151, v152
	v_pack_b32_f16 v61, v125, v72
	v_pack_b32_f16 v70, v126, v123
	v_pack_b32_f16 v71, v127, v154
	v_pack_b32_f16 v55, v55, v132
	v_pack_b32_f16 v72, v155, v156
	ds_store_2addr_b32 v141, v56, v58 offset0:24 offset1:28
	ds_store_2addr_b32 v141, v57, v59 offset0:32 offset1:36
	ds_store_2addr_b32 v141, v60, v61 offset0:40 offset1:44
	ds_store_2addr_b32 v141, v70, v71 offset0:48 offset1:52
	ds_store_2addr_b32 v141, v55, v72 offset0:56 offset1:60
	s_and_saveexec_b32 s2, s0
	s_cbranch_execz .LBB0_27
; %bb.26:
	v_and_or_b32 v55, 0x3fc0, v146, v114
	v_perm_b32 v56, v62, v5, 0x5040100
	v_perm_b32 v57, v65, v6, 0x5040100
	;; [unrolled: 1-line block ×4, first 2 shown]
	v_lshlrev_b32_e32 v55, 2, v55
	v_perm_b32 v60, v64, v9, 0x5040100
	v_perm_b32 v61, v68, v10, 0x5040100
	v_perm_b32 v13, v14, v13, 0x5040100
	v_perm_b32 v14, v16, v15, 0x5040100
	ds_store_2addr_b32 v55, v56, v57 offset1:4
	ds_store_2addr_b32 v55, v58, v59 offset0:8 offset1:12
	ds_store_2addr_b32 v55, v60, v61 offset0:16 offset1:20
	v_perm_b32 v56, v67, v11, 0x5040100
	v_perm_b32 v57, v69, v12, 0x5040100
	;; [unrolled: 1-line block ×8, first 2 shown]
	ds_store_2addr_b32 v55, v56, v57 offset0:24 offset1:28
	ds_store_2addr_b32 v55, v13, v14 offset0:32 offset1:36
	;; [unrolled: 1-line block ×5, first 2 shown]
.LBB0_27:
	s_wait_alu 0xfffe
	s_or_b32 exec_lo, exec_lo, s2
	global_wb scope:SCOPE_SE
	s_wait_dscnt 0x0
	s_barrier_signal -1
	s_barrier_wait -1
	global_inv scope:SCOPE_SE
	ds_load_2addr_stride64_b32 v[13:14], v73 offset1:8
	ds_load_2addr_stride64_b32 v[54:55], v73 offset0:21 offset1:29
	ds_load_2addr_stride64_b32 v[52:53], v73 offset0:42 offset1:50
	;; [unrolled: 1-line block ×7, first 2 shown]
	s_and_saveexec_b32 s0, s1
	s_cbranch_execz .LBB0_29
; %bb.28:
	ds_load_2addr_stride64_b32 v[5:6], v73 offset0:16 offset1:37
	ds_load_2addr_stride64_b32 v[7:8], v73 offset0:58 offset1:79
	;; [unrolled: 1-line block ×4, first 2 shown]
	s_wait_dscnt 0x3
	v_lshrrev_b32_e32 v62, 16, v5
	v_lshrrev_b32_e32 v65, 16, v6
	s_wait_dscnt 0x2
	v_lshrrev_b32_e32 v63, 16, v7
	v_lshrrev_b32_e32 v66, 16, v8
	s_wait_dscnt 0x1
	v_lshrrev_b32_e32 v64, 16, v9
	v_lshrrev_b32_e32 v68, 16, v10
	s_wait_dscnt 0x0
	v_lshrrev_b32_e32 v67, 16, v11
	v_lshrrev_b32_e32 v69, 16, v12
.LBB0_29:
	s_or_b32 exec_lo, exec_lo, s0
	s_wait_dscnt 0x6
	v_lshrrev_b32_e32 v71, 16, v54
	s_wait_dscnt 0x5
	v_lshrrev_b32_e32 v72, 16, v52
	;; [unrolled: 2-line block ×3, first 2 shown]
	v_mul_f16_e64 v127, v142, v54
	s_wait_dscnt 0x3
	v_lshrrev_b32_e32 v116, 16, v25
	v_mul_f16_e64 v126, v142, v71
	v_mul_f16_e64 v130, v138, v72
	s_wait_dscnt 0x2
	v_lshrrev_b32_e32 v117, 16, v23
	s_wait_dscnt 0x1
	v_lshrrev_b32_e32 v118, 16, v21
	v_mul_f16_e64 v131, v140, v116
	v_fmac_f16_e32 v126, v1, v54
	v_fma_f16 v54, v1, v71, -v127
	v_mul_f16_e64 v127, v144, v114
	v_mul_f16_e64 v71, v138, v52
	v_fmac_f16_e64 v130, v2, v52
	v_mul_f16_e64 v52, v144, v50
	s_wait_dscnt 0x0
	v_lshrrev_b32_e32 v119, 16, v15
	v_fmac_f16_e32 v127, v3, v50
	v_mul_f16_e64 v50, v140, v25
	v_lshrrev_b32_e32 v121, 16, v55
	v_lshrrev_b32_e32 v122, 16, v53
	v_fma_f16 v71, v2, v72, -v71
	v_fma_f16 v52, v3, v114, -v52
	v_fmac_f16_e64 v131, v4, v25
	v_mul_f16_e64 v25, v143, v117
	v_mul_f16_e64 v72, v143, v23
	v_fma_f16 v50, v4, v116, -v50
	v_mul_f16_e64 v114, v139, v118
	v_mul_f16_e64 v116, v139, v21
	v_lshrrev_b32_e32 v123, 16, v51
	v_fmac_f16_e32 v25, v28, v23
	v_fma_f16 v23, v28, v117, -v72
	v_mul_f16_e64 v72, v145, v119
	v_fmac_f16_e32 v114, v29, v21
	v_fma_f16 v21, v29, v118, -v116
	v_mul_f16_e64 v116, v145, v15
	v_mul_f16_e64 v117, v142, v121
	;; [unrolled: 1-line block ×3, first 2 shown]
	v_lshrrev_b32_e32 v70, 16, v13
	v_lshrrev_b32_e32 v124, 16, v26
	;; [unrolled: 1-line block ×4, first 2 shown]
	v_fmac_f16_e32 v72, v30, v15
	v_mul_f16_e64 v15, v142, v55
	v_fma_f16 v116, v30, v119, -v116
	v_fmac_f16_e32 v117, v1, v55
	v_mul_f16_e64 v55, v138, v53
	v_fmac_f16_e32 v118, v2, v53
	v_mul_f16_e64 v53, v144, v123
	v_mul_f16_e64 v119, v144, v51
	v_fma_f16 v15, v1, v121, -v15
	v_fma_f16 v55, v2, v122, -v55
	v_mul_f16_e64 v121, v140, v124
	v_mul_f16_e64 v122, v140, v26
	v_fmac_f16_e32 v53, v3, v51
	v_fma_f16 v51, v3, v123, -v119
	v_mul_f16_e64 v119, v143, v125
	v_mul_f16_e64 v123, v139, v128
	v_sub_f16_e32 v50, v70, v50
	v_sub_f16_e32 v21, v71, v21
	;; [unrolled: 1-line block ×4, first 2 shown]
	v_fmac_f16_e32 v121, v4, v26
	v_fma_f16 v26, v4, v124, -v122
	v_mul_f16_e64 v122, v143, v24
	v_fmac_f16_e32 v119, v28, v24
	v_mul_f16_e64 v24, v139, v22
	v_fmac_f16_e32 v123, v29, v22
	v_sub_f16_e64 v22, v13, v131
	v_sub_f16_e64 v114, v130, v114
	v_sub_f16_e32 v25, v126, v25
	v_fma_f16 v70, v70, 2.0, -v50
	v_fma_f16 v71, v71, 2.0, -v21
	v_sub_f16_e32 v72, v127, v72
	v_fma_f16 v54, v54, 2.0, -v23
	v_fma_f16 v52, v52, 2.0, -v116
	v_lshrrev_b32_e32 v129, 16, v16
	v_fma_f16 v122, v28, v125, -v122
	v_fma_f16 v125, v130, 2.0, -v114
	v_sub_f16_e32 v71, v70, v71
	v_fma_f16 v127, v127, 2.0, -v72
	v_add_f16_e32 v21, v22, v21
	v_sub_f16_e32 v114, v50, v114
	v_add_f16_e32 v116, v25, v116
	v_sub_f16_e32 v72, v23, v72
	v_sub_f16_e32 v52, v54, v52
	v_mul_f16_e64 v124, v145, v129
	v_fma_f16 v13, v13, 2.0, -v22
	v_fma_f16 v126, v126, 2.0, -v25
	;; [unrolled: 1-line block ×8, first 2 shown]
	v_lshrrev_b32_e32 v120, 16, v14
	v_fma_f16 v24, v29, v128, -v24
	v_fmac_f16_e32 v124, v30, v16
	v_sub_f16_e32 v125, v13, v125
	v_sub_f16_e32 v127, v126, v127
	v_fma_f16 v128, 0xb9a8, v25, v22
	v_mul_f16_e64 v16, v145, v16
	v_fma_f16 v130, 0xb9a8, v23, v50
	v_sub_f16_e32 v54, v70, v54
	v_fma_f16 v126, v126, 2.0, -v127
	v_fmac_f16_e64 v128, 0x39a8, v23
	v_fma_f16 v16, v30, v129, -v16
	v_fmac_f16_e64 v130, 0xb9a8, v25
	v_fma_f16 v23, v70, 2.0, -v54
	v_add_f16_e32 v25, v125, v52
	v_sub_f16_e32 v52, v71, v127
	v_fmamk_f16 v70, v116, 0x39a8, v21
	v_fmamk_f16 v127, v72, 0x39a8, v114
	v_sub_f16_e32 v26, v120, v26
	v_sub_f16_e32 v121, v14, v121
	;; [unrolled: 1-line block ×3, first 2 shown]
	v_fmac_f16_e32 v70, 0x39a8, v72
	v_fmac_f16_e32 v127, 0xb9a8, v116
	v_sub_f16_e32 v72, v118, v123
	v_sub_f16_e32 v116, v117, v119
	v_fma_f16 v119, v120, 2.0, -v26
	v_sub_f16_e32 v120, v15, v122
	v_sub_f16_e32 v122, v53, v124
	;; [unrolled: 1-line block ×3, first 2 shown]
	v_fma_f16 v118, v118, 2.0, -v72
	v_fma_f16 v55, v55, 2.0, -v24
	v_add_f16_e32 v24, v121, v24
	v_fma_f16 v53, v53, 2.0, -v122
	v_fma_f16 v51, v51, 2.0, -v16
	v_sub_f16_e32 v72, v26, v72
	v_add_f16_e32 v16, v116, v16
	v_sub_f16_e32 v122, v120, v122
	v_fma_f16 v14, v14, 2.0, -v121
	v_fma_f16 v117, v117, 2.0, -v116
	;; [unrolled: 1-line block ×7, first 2 shown]
	v_sub_f16_e32 v118, v14, v118
	v_sub_f16_e32 v55, v119, v55
	;; [unrolled: 1-line block ×4, first 2 shown]
	v_fma_f16 v13, v13, 2.0, -v125
	v_fmamk_f16 v123, v116, 0xb9a8, v121
	v_fmamk_f16 v124, v120, 0xb9a8, v26
	v_fma_f16 v14, v14, 2.0, -v118
	v_fma_f16 v119, v119, 2.0, -v55
	;; [unrolled: 1-line block ×4, first 2 shown]
	v_sub_f16_e32 v126, v13, v126
	v_fmac_f16_e32 v123, 0x39a8, v120
	v_fmac_f16_e32 v124, 0xb9a8, v116
	v_fmamk_f16 v116, v16, 0x39a8, v24
	v_fmamk_f16 v120, v122, 0x39a8, v72
	v_sub_f16_e32 v117, v14, v117
	v_sub_f16_e32 v15, v119, v15
	v_fma_f16 v13, v13, 2.0, -v126
	v_fma_f16 v22, v22, 2.0, -v128
	;; [unrolled: 1-line block ×3, first 2 shown]
	v_add_f16_e32 v51, v118, v51
	v_sub_f16_e32 v53, v55, v53
	v_fmac_f16_e32 v116, 0x39a8, v122
	v_fmac_f16_e32 v120, 0xb9a8, v16
	v_fma_f16 v125, v125, 2.0, -v25
	v_fma_f16 v71, v71, 2.0, -v52
	;; [unrolled: 1-line block ×8, first 2 shown]
	v_or_b32_e32 v59, 0x4800, v73
	v_or_b32_e32 v60, 0x7800, v73
	;; [unrolled: 1-line block ×7, first 2 shown]
	v_fma_f16 v26, v118, 2.0, -v51
	v_fma_f16 v55, v55, 2.0, -v53
	;; [unrolled: 1-line block ×4, first 2 shown]
	v_pack_b32_f16 v13, v13, v23
	v_pack_b32_f16 v22, v22, v50
	;; [unrolled: 1-line block ×10, first 2 shown]
	global_wb scope:SCOPE_SE
	s_barrier_signal -1
	s_barrier_wait -1
	global_inv scope:SCOPE_SE
	v_pack_b32_f16 v26, v26, v55
	v_pack_b32_f16 v24, v24, v72
	;; [unrolled: 1-line block ×6, first 2 shown]
	ds_store_2addr_stride64_b32 v148, v13, v22 offset1:1
	ds_store_2addr_stride64_b32 v148, v23, v21 offset0:2 offset1:3
	ds_store_2addr_stride64_b32 v148, v50, v54 offset0:4 offset1:5
	;; [unrolled: 1-line block ×3, first 2 shown]
	ds_store_2addr_stride64_b32 v147, v14, v16 offset1:1
	ds_store_2addr_stride64_b32 v147, v26, v24 offset0:2 offset1:3
	ds_store_2addr_stride64_b32 v147, v15, v55 offset0:4 offset1:5
	;; [unrolled: 1-line block ×3, first 2 shown]
	s_and_saveexec_b32 s0, s1
	s_cbranch_execz .LBB0_31
; %bb.30:
	v_mul_f16_e64 v15, v140, v64
	v_mul_f16_e64 v16, v142, v6
	;; [unrolled: 1-line block ×5, first 2 shown]
	v_fmac_f16_e32 v15, v4, v9
	v_mul_f16_e64 v23, v145, v69
	v_fma_f16 v16, v1, v65, -v16
	v_fmac_f16_e32 v22, v3, v8
	v_mul_f16_e64 v8, v144, v8
	v_mul_f16_e64 v25, v145, v12
	v_fmac_f16_e32 v26, v1, v6
	v_mul_f16_e64 v1, v140, v9
	v_mul_f16_e64 v6, v138, v63
	;; [unrolled: 1-line block ×5, first 2 shown]
	v_fma_f16 v21, v28, v68, -v21
	v_mul_f16_e64 v50, v143, v68
	v_fmac_f16_e32 v23, v30, v12
	v_fma_f16 v3, v3, v66, -v8
	v_fma_f16 v8, v30, v69, -v25
	;; [unrolled: 1-line block ×3, first 2 shown]
	v_fmac_f16_e32 v6, v2, v7
	v_fmac_f16_e32 v9, v29, v11
	v_fma_f16 v13, v2, v63, -v13
	v_fma_f16 v14, v29, v67, -v14
	v_sub_f16_e32 v15, v5, v15
	v_fmac_f16_e32 v50, v28, v10
	v_sub_f16_e32 v8, v3, v8
	v_sub_f16_e32 v2, v16, v21
	;; [unrolled: 1-line block ×8, first 2 shown]
	v_fma_f16 v5, v5, 2.0, -v15
	v_sub_f16_e32 v21, v1, v9
	v_fma_f16 v6, v6, 2.0, -v9
	v_fma_f16 v9, v16, 2.0, -v2
	;; [unrolled: 1-line block ×3, first 2 shown]
	v_add_f16_e32 v24, v14, v15
	v_add_f16_e32 v7, v8, v10
	v_fmamk_f16 v8, v11, 0x39a8, v21
	v_sub_f16_e32 v6, v5, v6
	v_sub_f16_e32 v3, v9, v3
	v_fma_f16 v25, v62, 2.0, -v1
	v_fma_f16 v13, v13, 2.0, -v14
	;; [unrolled: 1-line block ×4, first 2 shown]
	v_fmamk_f16 v12, v7, 0x39a8, v24
	v_fmac_f16_e32 v8, 0xb9a8, v7
	v_add_f16_e32 v23, v6, v3
	v_fma_f16 v15, v15, 2.0, -v24
	v_fma_f16 v7, v10, 2.0, -v7
	v_sub_f16_e32 v13, v25, v13
	v_sub_f16_e32 v4, v14, v4
	v_fma_f16 v2, v2, 2.0, -v11
	v_fma_f16 v1, v1, 2.0, -v21
	v_fmac_f16_e32 v12, 0x39a8, v11
	v_fma_f16 v10, v6, 2.0, -v23
	v_fmamk_f16 v11, v7, 0xb9a8, v15
	v_fma_f16 v5, v5, 2.0, -v6
	v_fma_f16 v6, v14, 2.0, -v4
	;; [unrolled: 1-line block ×4, first 2 shown]
	v_fmamk_f16 v9, v2, 0xb9a8, v1
	v_fmac_f16_e32 v11, 0x39a8, v2
	v_sub_f16_e32 v2, v5, v6
	v_sub_f16_e32 v4, v13, v4
	;; [unrolled: 1-line block ×3, first 2 shown]
	v_fmac_f16_e32 v9, 0xb9a8, v7
	v_fma_f16 v6, v15, 2.0, -v11
	v_fma_f16 v5, v5, 2.0, -v2
	v_and_or_b32 v7, 0x2e00, v137, v115
	v_fma_f16 v14, v14, 2.0, -v3
	v_fma_f16 v1, v1, 2.0, -v9
	;; [unrolled: 1-line block ×5, first 2 shown]
	v_lshlrev_b32_e32 v7, 2, v7
	v_pack_b32_f16 v5, v5, v14
	v_pack_b32_f16 v1, v6, v1
	;; [unrolled: 1-line block ×8, first 2 shown]
	ds_store_2addr_stride64_b32 v7, v5, v1 offset1:1
	ds_store_2addr_stride64_b32 v7, v6, v10 offset0:2 offset1:3
	ds_store_2addr_stride64_b32 v7, v2, v3 offset0:4 offset1:5
	;; [unrolled: 1-line block ×3, first 2 shown]
.LBB0_31:
	s_or_b32 exec_lo, exec_lo, s0
	global_wb scope:SCOPE_SE
	s_wait_dscnt 0x0
	s_barrier_signal -1
	s_barrier_wait -1
	global_inv scope:SCOPE_SE
	ds_load_2addr_stride64_b32 v[1:2], v73 offset1:8
	ds_load_2addr_stride64_b32 v[3:4], v73 offset0:16 offset1:24
	ds_load_2addr_stride64_b32 v[5:6], v73 offset0:48 offset1:64
	ds_load_b32 v15, v59
	ds_load_2addr_stride64_b32 v[7:8], v73 offset0:80 offset1:96
	ds_load_b32 v16, v60
	ds_load_2addr_stride64_b32 v[9:10], v73 offset0:144 offset1:160
	ds_load_2addr_stride64_b32 v[11:12], v73 offset0:32 offset1:40
	ds_load_b32 v21, v61
	ds_load_b32 v22, v27
	ds_load_2addr_stride64_b32 v[13:14], v73 offset0:112 offset1:128
	ds_load_b32 v23, v56
	ds_load_b32 v24, v57
	;; [unrolled: 1-line block ×3, first 2 shown]
	global_wb scope:SCOPE_SE
	s_wait_dscnt 0x0
	s_barrier_signal -1
	s_barrier_wait -1
	global_inv scope:SCOPE_SE
	s_mov_b32 s10, 0x18618618
	s_mov_b32 s11, 0x3f186186
	v_lshrrev_b32_e32 v26, 16, v1
	v_lshrrev_b32_e32 v28, 16, v4
	;; [unrolled: 1-line block ×6, first 2 shown]
	v_mul_f16_e64 v69, v166, v28
	v_lshrrev_b32_e32 v52, 16, v9
	v_mul_f16_e64 v115, v168, v29
	v_mul_f16_e64 v116, v168, v5
	;; [unrolled: 1-line block ×3, first 2 shown]
	v_fmac_f16_e32 v69, v17, v4
	v_mul_f16_e64 v4, v166, v4
	v_mul_f16_e64 v118, v170, v15
	v_lshrrev_b32_e32 v54, 16, v11
	v_lshrrev_b32_e32 v55, 16, v21
	v_fmac_f16_e32 v115, v18, v5
	v_fma_f16 v4, v17, v28, -v4
	v_fma_f16 v5, v18, v29, -v116
	v_fmac_f16_e32 v117, v19, v15
	v_fma_f16 v15, v19, v30, -v118
	v_mul_f16_e64 v28, v169, v50
	v_mul_f16_e64 v29, v169, v8
	;; [unrolled: 1-line block ×5, first 2 shown]
	v_lshrrev_b32_e32 v62, 16, v7
	v_lshrrev_b32_e32 v63, 16, v22
	;; [unrolled: 1-line block ×3, first 2 shown]
	v_fmac_f16_e32 v28, v20, v8
	v_fma_f16 v8, v20, v50, -v29
	v_fmac_f16_e32 v30, v34, v16
	v_fma_f16 v16, v34, v51, -v116
	v_fmac_f16_e32 v118, v35, v9
	v_mul_f16_e64 v9, v164, v9
	v_mul_f16_e64 v29, v166, v54
	;; [unrolled: 1-line block ×5, first 2 shown]
	v_lshrrev_b32_e32 v65, 16, v23
	v_lshrrev_b32_e32 v67, 16, v12
	v_fma_f16 v9, v35, v52, -v9
	v_fmac_f16_e32 v29, v17, v11
	v_fma_f16 v11, v17, v54, -v50
	v_fmac_f16_e32 v51, v18, v21
	v_fma_f16 v21, v18, v55, -v116
	v_mul_f16_e64 v50, v170, v62
	v_mul_f16_e64 v52, v170, v7
	;; [unrolled: 1-line block ×5, first 2 shown]
	v_lshrrev_b32_e32 v68, 16, v6
	v_lshrrev_b32_e32 v70, 16, v24
	;; [unrolled: 1-line block ×3, first 2 shown]
	v_fmac_f16_e32 v50, v19, v7
	v_fma_f16 v7, v19, v62, -v52
	v_fmac_f16_e32 v54, v20, v22
	v_fma_f16 v22, v20, v63, -v55
	v_fmac_f16_e32 v116, v34, v14
	v_mul_f16_e64 v14, v167, v14
	v_mul_f16_e64 v52, v164, v65
	;; [unrolled: 1-line block ×5, first 2 shown]
	v_lshrrev_b32_e32 v72, 16, v25
	v_lshrrev_b32_e32 v114, 16, v10
	v_fma_f16 v14, v34, v64, -v14
	v_fmac_f16_e32 v52, v35, v23
	v_fma_f16 v23, v35, v65, -v55
	v_fmac_f16_e32 v62, v17, v12
	v_fma_f16 v12, v17, v67, -v63
	v_mul_f16_e64 v17, v168, v68
	v_mul_f16_e64 v55, v168, v6
	;; [unrolled: 1-line block ×5, first 2 shown]
	v_fmac_f16_e32 v17, v18, v6
	v_fma_f16 v6, v18, v68, -v55
	v_fmac_f16_e32 v63, v19, v24
	v_fma_f16 v18, v19, v70, -v64
	v_fmac_f16_e32 v65, v20, v13
	v_mul_f16_e64 v13, v169, v13
	v_mul_f16_e64 v19, v167, v72
	v_mul_f16_e64 v24, v167, v25
	v_mul_f16_e64 v55, v164, v114
	v_mul_f16_e64 v64, v164, v10
	v_fma_f16 v13, v20, v71, -v13
	v_fmac_f16_e32 v19, v34, v25
	v_fma_f16 v20, v34, v72, -v24
	v_fmac_f16_e32 v55, v35, v10
	v_fma_f16 v10, v35, v114, -v64
	v_add_f16_e32 v24, v69, v118
	v_add_f16_e32 v25, v4, v9
	v_sub_f16_e32 v4, v4, v9
	v_add_f16_e32 v9, v115, v30
	v_add_f16_e32 v35, v5, v16
	v_sub_f16_e32 v34, v69, v118
	v_sub_f16_e32 v30, v115, v30
	v_sub_f16_e32 v5, v5, v16
	v_add_f16_e32 v16, v117, v28
	v_add_f16_e32 v64, v15, v8
	v_sub_f16_e32 v28, v28, v117
	v_sub_f16_e32 v8, v8, v15
	v_add_f16_e32 v15, v9, v24
	v_add_f16_e32 v67, v35, v25
	v_sub_f16_e32 v68, v9, v24
	v_sub_f16_e32 v69, v35, v25
	;; [unrolled: 1-line block ×6, first 2 shown]
	v_add_f16_e32 v70, v28, v30
	v_add_f16_e32 v71, v8, v5
	v_sub_f16_e32 v72, v28, v30
	v_sub_f16_e32 v114, v8, v5
	v_sub_f16_e32 v30, v30, v34
	v_add_f16_e32 v15, v16, v15
	v_add_f16_e32 v16, v64, v67
	v_sub_f16_e32 v5, v5, v4
	v_sub_f16_e32 v28, v34, v28
	;; [unrolled: 1-line block ×3, first 2 shown]
	v_add_f16_e32 v34, v70, v34
	v_add_f16_e32 v4, v71, v4
	v_add_f16_e32 v1, v1, v15
	v_add_f16_e32 v26, v26, v16
	v_mul_f16_e32 v24, 0x3a52, v24
	v_mul_f16_e32 v25, 0x3a52, v25
	;; [unrolled: 1-line block ×8, first 2 shown]
	v_fmamk_f16 v15, v15, 0xbcab, v1
	v_fmamk_f16 v16, v16, 0xbcab, v26
	;; [unrolled: 1-line block ×4, first 2 shown]
	v_fma_f16 v64, v68, 0x39e0, -v64
	v_fma_f16 v67, v69, 0x39e0, -v67
	;; [unrolled: 1-line block ×4, first 2 shown]
	v_fmamk_f16 v68, v28, 0xb574, v70
	v_fmamk_f16 v69, v8, 0xb574, v71
	v_fma_f16 v28, v28, 0x3574, -v72
	v_fma_f16 v8, v8, 0x3574, -v114
	;; [unrolled: 1-line block ×4, first 2 shown]
	v_add_f16_e32 v9, v9, v15
	v_add_f16_e32 v35, v35, v16
	;; [unrolled: 1-line block ×6, first 2 shown]
	v_fmac_f16_e32 v68, 0xb70e, v34
	v_fmac_f16_e32 v8, 0xb70e, v4
	;; [unrolled: 1-line block ×5, first 2 shown]
	v_sub_f16_e32 v24, v35, v68
	v_add_f16_e32 v25, v8, v15
	v_sub_f16_e32 v34, v16, v28
	v_sub_f16_e32 v8, v15, v8
	v_add_f16_e32 v15, v28, v16
	v_add_f16_e32 v16, v68, v35
	;; [unrolled: 1-line block ×4, first 2 shown]
	v_sub_f16_e32 v29, v29, v52
	v_sub_f16_e32 v11, v11, v23
	v_add_f16_e32 v23, v51, v116
	v_add_f16_e32 v52, v21, v14
	v_fmac_f16_e32 v69, 0xb70e, v4
	v_sub_f16_e32 v70, v64, v5
	v_add_f16_e32 v5, v5, v64
	v_sub_f16_e32 v51, v51, v116
	v_sub_f16_e32 v14, v21, v14
	v_add_f16_e32 v21, v50, v54
	v_add_f16_e32 v64, v7, v22
	v_sub_f16_e32 v50, v54, v50
	v_sub_f16_e32 v7, v22, v7
	v_add_f16_e32 v22, v23, v28
	v_add_f16_e32 v54, v52, v35
	v_lshrrev_b32_e32 v53, 16, v2
	v_add_f16_e32 v4, v69, v9
	v_add_f16_e32 v71, v30, v67
	v_sub_f16_e32 v30, v67, v30
	v_sub_f16_e32 v9, v9, v69
	;; [unrolled: 1-line block ×8, first 2 shown]
	v_add_f16_e32 v69, v50, v51
	v_add_f16_e32 v72, v7, v14
	v_sub_f16_e32 v114, v50, v51
	v_sub_f16_e32 v115, v7, v14
	;; [unrolled: 1-line block ×3, first 2 shown]
	v_add_f16_e32 v21, v21, v22
	v_add_f16_e32 v22, v64, v54
	v_sub_f16_e32 v14, v14, v11
	v_sub_f16_e32 v50, v29, v50
	;; [unrolled: 1-line block ×3, first 2 shown]
	v_add_f16_e32 v29, v69, v29
	v_add_f16_e32 v11, v72, v11
	;; [unrolled: 1-line block ×4, first 2 shown]
	v_mul_f16_e32 v28, 0x3a52, v28
	v_mul_f16_e32 v35, 0x3a52, v35
	;; [unrolled: 1-line block ×8, first 2 shown]
	v_fmamk_f16 v21, v21, 0xbcab, v2
	v_fmamk_f16 v22, v22, 0xbcab, v53
	;; [unrolled: 1-line block ×4, first 2 shown]
	v_fma_f16 v54, v67, 0x39e0, -v54
	v_fma_f16 v64, v68, 0x39e0, -v64
	;; [unrolled: 1-line block ×4, first 2 shown]
	v_fmamk_f16 v67, v50, 0xb574, v69
	v_fmamk_f16 v68, v7, 0xb574, v72
	v_fma_f16 v14, v14, 0xbb00, -v72
	v_fma_f16 v50, v50, 0x3574, -v114
	;; [unrolled: 1-line block ×4, first 2 shown]
	v_add_f16_e32 v23, v23, v21
	v_add_f16_e32 v52, v52, v22
	;; [unrolled: 1-line block ×6, first 2 shown]
	v_fmac_f16_e32 v67, 0xb70e, v29
	v_fmac_f16_e32 v68, 0xb70e, v11
	;; [unrolled: 1-line block ×6, first 2 shown]
	v_add_f16_e32 v11, v68, v23
	v_sub_f16_e32 v28, v52, v67
	v_add_f16_e32 v29, v7, v21
	v_sub_f16_e32 v35, v22, v50
	v_sub_f16_e32 v69, v54, v14
	v_add_f16_e32 v14, v14, v54
	v_sub_f16_e32 v7, v21, v7
	v_add_f16_e32 v21, v50, v22
	;; [unrolled: 2-line block ×3, first 2 shown]
	v_add_f16_e32 v50, v62, v55
	v_add_f16_e32 v52, v12, v10
	v_sub_f16_e32 v54, v62, v55
	v_sub_f16_e32 v10, v12, v10
	v_add_f16_e32 v12, v17, v19
	v_add_f16_e32 v55, v6, v20
	v_sub_f16_e32 v17, v17, v19
	v_sub_f16_e32 v6, v6, v20
	;; [unrolled: 4-line block ×3, first 2 shown]
	v_add_f16_e32 v18, v12, v50
	v_add_f16_e32 v63, v55, v52
	v_lshrrev_b32_e32 v66, 16, v3
	v_add_f16_e32 v72, v51, v64
	v_sub_f16_e32 v51, v64, v51
	v_sub_f16_e32 v64, v12, v50
	;; [unrolled: 1-line block ×7, first 2 shown]
	v_add_f16_e32 v67, v62, v17
	v_add_f16_e32 v68, v13, v6
	v_sub_f16_e32 v114, v62, v17
	v_sub_f16_e32 v115, v13, v6
	v_sub_f16_e32 v17, v17, v54
	v_add_f16_e32 v18, v19, v18
	v_add_f16_e32 v19, v20, v63
	v_sub_f16_e32 v6, v6, v10
	v_sub_f16_e32 v62, v54, v62
	;; [unrolled: 1-line block ×3, first 2 shown]
	v_add_f16_e32 v20, v67, v54
	v_add_f16_e32 v10, v68, v10
	;; [unrolled: 1-line block ×4, first 2 shown]
	v_mul_f16_e32 v50, 0x3a52, v50
	v_mul_f16_e32 v52, 0x3a52, v52
	;; [unrolled: 1-line block ×8, first 2 shown]
	v_fmamk_f16 v18, v18, 0xbcab, v3
	v_fmamk_f16 v19, v19, 0xbcab, v54
	v_fmamk_f16 v12, v12, 0x2b26, v50
	v_fmamk_f16 v55, v55, 0x2b26, v52
	v_fma_f16 v63, v64, 0x39e0, -v63
	v_fma_f16 v66, v65, 0x39e0, -v66
	;; [unrolled: 1-line block ×4, first 2 shown]
	v_fmamk_f16 v64, v62, 0xb574, v67
	v_fmamk_f16 v65, v13, 0xb574, v68
	v_fma_f16 v62, v62, 0x3574, -v114
	v_fma_f16 v13, v13, 0x3574, -v115
	;; [unrolled: 1-line block ×4, first 2 shown]
	v_add_f16_e32 v12, v12, v18
	v_add_f16_e32 v55, v55, v19
	;; [unrolled: 1-line block ×6, first 2 shown]
	v_fmac_f16_e32 v64, 0xb70e, v20
	v_fmac_f16_e32 v65, 0xb70e, v10
	;; [unrolled: 1-line block ×4, first 2 shown]
	v_pack_b32_f16 v1, v1, v26
	v_pack_b32_f16 v4, v4, v24
	v_fmac_f16_e32 v17, 0xb70e, v20
	v_fmac_f16_e32 v6, 0xb70e, v10
	v_pack_b32_f16 v24, v25, v34
	v_pack_b32_f16 v25, v70, v71
	;; [unrolled: 1-line block ×4, first 2 shown]
	v_add_f16_e32 v10, v65, v12
	v_sub_f16_e32 v20, v55, v64
	v_add_f16_e32 v50, v13, v18
	v_sub_f16_e32 v52, v19, v62
	ds_store_2addr_stride64_b32 v73, v1, v4 offset1:8
	ds_store_2addr_stride64_b32 v73, v24, v25 offset0:16 offset1:24
	ds_store_2addr_stride64_b32 v73, v5, v8 offset0:32 offset1:40
	v_pack_b32_f16 v4, v69, v72
	v_pack_b32_f16 v5, v7, v21
	v_sub_f16_e32 v67, v63, v6
	v_add_f16_e32 v68, v17, v66
	v_pack_b32_f16 v1, v2, v53
	v_pack_b32_f16 v2, v29, v35
	;; [unrolled: 1-line block ×3, first 2 shown]
	v_sub_f16_e32 v13, v18, v13
	v_add_f16_e32 v18, v62, v19
	v_add_f16_e32 v6, v6, v63
	v_sub_f16_e32 v17, v66, v17
	v_sub_f16_e32 v12, v12, v65
	v_add_f16_e32 v19, v64, v55
	v_pack_b32_f16 v9, v9, v16
	v_pack_b32_f16 v11, v11, v28
	;; [unrolled: 1-line block ×3, first 2 shown]
	ds_store_2addr_stride64_b32 v73, v4, v5 offset0:80 offset1:96
	v_pack_b32_f16 v3, v3, v54
	v_pack_b32_f16 v5, v50, v52
	ds_store_b32 v59, v2
	ds_store_b32 v27, v7
	v_pack_b32_f16 v7, v67, v68
	v_pack_b32_f16 v2, v14, v51
	;; [unrolled: 1-line block ×3, first 2 shown]
	ds_store_2addr_stride64_b32 v73, v9, v11 offset0:48 offset1:64
	ds_store_b32 v61, v1
	ds_store_b32 v60, v8
	v_pack_b32_f16 v1, v6, v17
	v_pack_b32_f16 v6, v12, v19
	ds_store_2addr_stride64_b32 v73, v3, v5 offset0:112 offset1:128
	ds_store_b32 v58, v7
	ds_store_b32 v57, v2
	;; [unrolled: 1-line block ×3, first 2 shown]
	ds_store_2addr_stride64_b32 v73, v1, v6 offset0:144 offset1:160
	global_wb scope:SCOPE_SE
	s_wait_dscnt 0x0
	s_barrier_signal -1
	s_barrier_wait -1
	global_inv scope:SCOPE_SE
	ds_load_2addr_stride64_b32 v[1:2], v73 offset1:8
	ds_load_b32 v15, v61
	ds_load_2addr_stride64_b32 v[3:4], v73 offset0:112 offset1:128
	ds_load_2addr_stride64_b32 v[5:6], v73 offset0:48 offset1:64
	ds_load_b32 v16, v27
	ds_load_b32 v17, v60
	ds_load_2addr_stride64_b32 v[7:8], v73 offset0:16 offset1:24
	ds_load_b32 v18, v59
	ds_load_2addr_stride64_b32 v[9:10], v73 offset0:80 offset1:96
	;; [unrolled: 2-line block ×4, first 2 shown]
	ds_load_b32 v21, v56
	s_wait_dscnt 0xd
	v_lshrrev_b32_e32 v22, 16, v1
	s_wait_dscnt 0xc
	v_lshrrev_b32_e32 v23, 16, v15
	;; [unrolled: 2-line block ×4, first 2 shown]
	v_mul_f16_e64 v67, v172, v15
	s_wait_dscnt 0x8
	v_lshrrev_b32_e32 v28, 16, v17
	v_mul_f16_e64 v65, v172, v23
	v_mul_f16_e64 v69, v171, v24
	s_wait_dscnt 0x6
	v_lshrrev_b32_e32 v30, 16, v18
	v_fma_f16 v23, v42, v23, -v67
	v_lshrrev_b32_e32 v34, 16, v4
	v_fmac_f16_e32 v65, v42, v15
	v_mul_f16_e64 v15, v171, v3
	v_mul_f16_e64 v42, v174, v26
	v_fmac_f16_e32 v69, v43, v3
	v_mul_f16_e64 v3, v174, v6
	s_wait_dscnt 0x5
	v_lshrrev_b32_e32 v50, 16, v9
	v_fma_f16 v15, v43, v24, -v15
	v_mul_f16_e64 v24, v173, v28
	v_fmac_f16_e32 v42, v40, v6
	v_mul_f16_e64 v6, v173, v17
	v_fma_f16 v3, v40, v26, -v3
	v_mul_f16_e64 v26, v177, v30
	v_fmac_f16_e32 v24, v41, v17
	v_mul_f16_e64 v17, v177, v18
	s_wait_dscnt 0x4
	v_lshrrev_b32_e32 v51, 16, v19
	v_fma_f16 v6, v41, v28, -v6
	v_mul_f16_e64 v28, v176, v34
	v_fmac_f16_e32 v26, v38, v18
	v_mul_f16_e64 v18, v176, v4
	v_fma_f16 v17, v38, v30, -v17
	v_mul_f16_e64 v30, v178, v50
	s_wait_dscnt 0x2
	v_lshrrev_b32_e32 v53, 16, v20
	s_wait_dscnt 0x1
	v_lshrrev_b32_e32 v54, 16, v13
	v_fmac_f16_e32 v28, v39, v4
	v_mul_f16_e64 v4, v178, v9
	v_fma_f16 v18, v39, v34, -v18
	v_mul_f16_e64 v34, v175, v51
	v_fmac_f16_e32 v30, v36, v9
	v_mul_f16_e64 v9, v175, v19
	v_lshrrev_b32_e32 v62, 16, v10
	v_fma_f16 v4, v36, v50, -v4
	v_mul_f16_e64 v36, v182, v53
	v_fmac_f16_e32 v34, v37, v19
	v_fma_f16 v9, v37, v51, -v9
	v_mul_f16_e64 v37, v181, v54
	s_wait_dscnt 0x0
	v_lshrrev_b32_e32 v63, 16, v21
	v_lshrrev_b32_e32 v66, 16, v16
	v_lshrrev_b32_e32 v68, 16, v14
	v_mul_f16_e64 v19, v182, v20
	v_fmac_f16_e32 v36, v48, v20
	v_mul_f16_e64 v20, v181, v13
	v_mul_f16_e64 v38, v179, v62
	v_fmac_f16_e32 v37, v49, v13
	v_mul_f16_e64 v13, v179, v10
	v_mul_f16_e64 v39, v180, v63
	;; [unrolled: 1-line block ×3, first 2 shown]
	v_fmac_f16_e32 v38, v44, v10
	v_mul_f16_e64 v41, v183, v68
	v_fma_f16 v13, v44, v62, -v13
	v_add_f16_e32 v43, v65, v69
	v_add_f16_e32 v44, v23, v15
	v_mul_f16_e64 v10, v180, v21
	v_fmac_f16_e32 v39, v45, v21
	v_mul_f16_e64 v21, v184, v16
	v_fmac_f16_e32 v40, v46, v16
	;; [unrolled: 2-line block ×3, first 2 shown]
	v_add_f16_e32 v14, v1, v65
	v_fma_f16 v1, -0.5, v43, v1
	v_sub_f16_e32 v43, v23, v15
	v_add_f16_e32 v23, v22, v23
	v_fmac_f16_e32 v22, -0.5, v44
	v_sub_f16_e32 v44, v65, v69
	v_lshrrev_b32_e32 v25, 16, v2
	v_fma_f16 v10, v45, v63, -v10
	v_fma_f16 v21, v46, v66, -v21
	v_fmamk_f16 v45, v43, 0xbaee, v1
	v_fmac_f16_e32 v1, 0x3aee, v43
	v_add_f16_e32 v15, v23, v15
	v_add_f16_e32 v23, v42, v24
	v_fmamk_f16 v43, v44, 0x3aee, v22
	v_add_f16_e32 v46, v2, v42
	v_fmac_f16_e32 v22, 0xbaee, v44
	v_add_f16_e32 v44, v3, v6
	v_fmac_f16_e32 v2, -0.5, v23
	v_sub_f16_e32 v23, v3, v6
	v_add_f16_e32 v46, v46, v24
	v_add_f16_e32 v3, v25, v3
	v_fmac_f16_e32 v25, -0.5, v44
	v_sub_f16_e32 v24, v42, v24
	v_lshrrev_b32_e32 v29, 16, v7
	v_fmamk_f16 v42, v23, 0xbaee, v2
	v_fmac_f16_e32 v2, 0x3aee, v23
	v_add_f16_e32 v3, v3, v6
	v_add_f16_e32 v6, v26, v28
	v_fmamk_f16 v23, v24, 0x3aee, v25
	v_fmac_f16_e32 v25, 0xbaee, v24
	v_add_f16_e32 v24, v17, v18
	v_add_f16_e32 v44, v7, v26
	v_fma_f16 v6, -0.5, v6, v7
	v_sub_f16_e32 v7, v17, v18
	v_add_f16_e32 v17, v29, v17
	v_fmac_f16_e32 v29, -0.5, v24
	v_sub_f16_e32 v24, v26, v28
	v_lshrrev_b32_e32 v35, 16, v8
	v_fmamk_f16 v26, v7, 0xbaee, v6
	v_fmac_f16_e32 v6, 0x3aee, v7
	v_add_f16_e32 v7, v17, v18
	v_add_f16_e32 v17, v30, v34
	v_fmamk_f16 v18, v24, 0x3aee, v29
	v_fmac_f16_e32 v29, 0xbaee, v24
	v_add_f16_e32 v24, v4, v9
	v_fma_f16 v19, v48, v53, -v19
	v_fma_f16 v20, v49, v54, -v20
	v_add_f16_e32 v44, v44, v28
	v_add_f16_e32 v28, v8, v30
	v_fmac_f16_e32 v8, -0.5, v17
	v_sub_f16_e32 v17, v4, v9
	v_add_f16_e32 v4, v35, v4
	v_fmac_f16_e32 v35, -0.5, v24
	v_sub_f16_e32 v24, v30, v34
	v_lshrrev_b32_e32 v52, 16, v11
	v_fmamk_f16 v30, v17, 0xbaee, v8
	v_fmac_f16_e32 v8, 0x3aee, v17
	v_add_f16_e32 v4, v4, v9
	v_add_f16_e32 v9, v36, v37
	v_fmamk_f16 v17, v24, 0x3aee, v35
	v_fmac_f16_e32 v35, 0xbaee, v24
	v_add_f16_e32 v24, v19, v20
	v_add_f16_e32 v28, v28, v34
	;; [unrolled: 1-line block ×3, first 2 shown]
	v_fma_f16 v9, -0.5, v9, v11
	v_sub_f16_e32 v11, v19, v20
	v_add_f16_e32 v19, v52, v19
	v_fmac_f16_e32 v52, -0.5, v24
	v_sub_f16_e32 v24, v36, v37
	v_lshrrev_b32_e32 v55, 16, v12
	v_add_f16_e32 v34, v34, v37
	v_fmamk_f16 v36, v11, 0xbaee, v9
	v_fmac_f16_e32 v9, 0x3aee, v11
	v_add_f16_e32 v11, v19, v20
	v_add_f16_e32 v19, v38, v39
	v_fmamk_f16 v20, v24, 0x3aee, v52
	v_add_f16_e32 v37, v12, v38
	v_fmac_f16_e32 v52, 0xbaee, v24
	v_add_f16_e32 v24, v13, v10
	v_lshrrev_b32_e32 v64, 16, v5
	v_fma_f16 v16, v47, v68, -v16
	v_fmac_f16_e32 v12, -0.5, v19
	v_sub_f16_e32 v19, v13, v10
	v_add_f16_e32 v37, v37, v39
	v_add_f16_e32 v13, v55, v13
	v_fmac_f16_e32 v55, -0.5, v24
	v_sub_f16_e32 v24, v38, v39
	v_add_f16_e32 v39, v40, v41
	v_add_f16_e32 v14, v14, v69
	v_fmamk_f16 v38, v19, 0xbaee, v12
	v_fmac_f16_e32 v12, 0x3aee, v19
	v_add_f16_e32 v19, v5, v40
	v_fmac_f16_e32 v5, -0.5, v39
	v_sub_f16_e32 v39, v21, v16
	v_add_f16_e32 v47, v21, v16
	v_add_f16_e32 v21, v64, v21
	v_pack_b32_f16 v14, v14, v15
	v_pack_b32_f16 v3, v46, v3
	v_add_f16_e32 v10, v13, v10
	v_fmamk_f16 v13, v24, 0x3aee, v55
	v_add_f16_e32 v16, v21, v16
	v_pack_b32_f16 v21, v45, v43
	v_fmac_f16_e32 v64, -0.5, v47
	v_sub_f16_e32 v40, v40, v41
	v_pack_b32_f16 v2, v2, v25
	v_add_f16_e32 v19, v19, v41
	ds_store_2addr_stride64_b32 v73, v14, v3 offset1:8
	v_pack_b32_f16 v14, v26, v18
	v_pack_b32_f16 v1, v1, v22
	;; [unrolled: 1-line block ×5, first 2 shown]
	v_fmac_f16_e32 v55, 0xbaee, v24
	ds_store_b32 v61, v21
	ds_store_b32 v60, v2
	;; [unrolled: 1-line block ×3, first 2 shown]
	ds_store_2addr_stride64_b32 v73, v1, v6 offset0:112 offset1:128
	ds_store_2addr_stride64_b32 v73, v7, v4 offset0:16 offset1:24
	v_pack_b32_f16 v4, v34, v11
	v_pack_b32_f16 v6, v37, v10
	v_fmamk_f16 v24, v39, 0xbaee, v5
	v_fmamk_f16 v15, v40, 0x3aee, v64
	v_pack_b32_f16 v1, v30, v17
	v_pack_b32_f16 v7, v38, v13
	v_fmac_f16_e32 v5, 0x3aee, v39
	v_fmac_f16_e32 v64, 0xbaee, v40
	v_pack_b32_f16 v3, v42, v23
	v_pack_b32_f16 v10, v19, v16
	;; [unrolled: 1-line block ×4, first 2 shown]
	ds_store_2addr_stride64_b32 v73, v4, v6 offset0:32 offset1:40
	ds_store_2addr_stride64_b32 v73, v1, v7 offset0:80 offset1:96
	v_pack_b32_f16 v1, v12, v55
	v_pack_b32_f16 v15, v24, v15
	;; [unrolled: 1-line block ×3, first 2 shown]
	ds_store_2addr_stride64_b32 v73, v10, v3 offset0:48 offset1:64
	v_pack_b32_f16 v3, v5, v64
	ds_store_b32 v58, v2
	ds_store_b32 v57, v8
	;; [unrolled: 1-line block ×4, first 2 shown]
	ds_store_2addr_stride64_b32 v73, v9, v3 offset0:144 offset1:160
	global_wb scope:SCOPE_SE
	s_wait_dscnt 0x0
	s_barrier_signal -1
	s_barrier_wait -1
	global_inv scope:SCOPE_SE
	ds_load_2addr_stride64_b32 v[4:5], v73 offset1:8
	s_wait_dscnt 0x0
	v_lshrrev_b32_e32 v3, 16, v4
	s_delay_alu instid0(VALU_DEP_1) | instskip(NEXT) | instid1(VALU_DEP_1)
	v_mul_f16_e32 v1, v113, v3
	v_fmac_f16_e32 v1, v111, v4
	v_mul_f16_e32 v4, v113, v4
	s_delay_alu instid0(VALU_DEP_2) | instskip(NEXT) | instid1(VALU_DEP_2)
	v_cvt_f32_f16_e32 v1, v1
	v_fma_f16 v3, v111, v3, -v4
	s_delay_alu instid0(VALU_DEP_2) | instskip(NEXT) | instid1(VALU_DEP_2)
	v_cvt_f64_f32_e32 v[1:2], v1
	v_cvt_f32_f16_e32 v3, v3
	s_delay_alu instid0(VALU_DEP_1) | instskip(SKIP_1) | instid1(VALU_DEP_3)
	v_cvt_f64_f32_e32 v[6:7], v3
	s_wait_alu 0xfffe
	v_mul_f64_e32 v[8:9], s[10:11], v[1:2]
	ds_load_2addr_stride64_b32 v[2:3], v73 offset0:32 offset1:42
	v_mul_f64_e32 v[6:7], s[10:11], v[6:7]
	s_wait_dscnt 0x0
	v_lshrrev_b32_e32 v1, 16, v3
	s_delay_alu instid0(VALU_DEP_1) | instskip(NEXT) | instid1(VALU_DEP_1)
	v_mul_f16_e32 v4, v112, v1
	v_fmac_f16_e32 v4, v110, v3
	v_mul_f16_e32 v3, v112, v3
	s_delay_alu instid0(VALU_DEP_2) | instskip(NEXT) | instid1(VALU_DEP_2)
	v_cvt_f32_f16_e32 v4, v4
	v_fma_f16 v1, v110, v1, -v3
	v_and_or_b32 v8, 0x1ff, v9, v8
	v_lshrrev_b32_e32 v10, 8, v9
	v_bfe_u32 v12, v9, 20, 11
	v_lshrrev_b32_e32 v9, 16, v9
	v_cvt_f32_f16_e32 v1, v1
	v_cmp_ne_u32_e64 s0, 0, v8
	v_and_or_b32 v6, 0x1ff, v7, v6
	v_lshrrev_b32_e32 v15, 8, v7
	v_bfe_u32 v16, v7, 20, 11
	v_add_nc_u32_e32 v17, 0xfffffc10, v12
	v_cndmask_b32_e64 v8, 0, 1, s0
	v_cmp_ne_u32_e64 s0, 0, v6
	v_lshrrev_b32_e32 v7, 16, v7
	v_sub_nc_u32_e32 v3, 0x3f1, v16
	v_add_nc_u32_e32 v20, 0xfffffc10, v16
	v_and_or_b32 v8, 0xffe, v10, v8
	v_cvt_f64_f32_e32 v[10:11], v4
	v_sub_nc_u32_e32 v4, 0x3f1, v12
	s_wait_alu 0xf1ff
	v_cndmask_b32_e64 v6, 0, 1, s0
	v_med3_i32 v3, v3, 0, 13
	v_or_b32_e32 v13, 0x1000, v8
	v_lshl_or_b32 v12, v17, 12, v8
	v_med3_i32 v4, v4, 0, 13
	v_and_or_b32 v6, 0xffe, v15, v6
	s_delay_alu instid0(VALU_DEP_2) | instskip(NEXT) | instid1(VALU_DEP_2)
	v_lshrrev_b32_e32 v14, v4, v13
	v_or_b32_e32 v18, 0x1000, v6
	s_delay_alu instid0(VALU_DEP_2) | instskip(NEXT) | instid1(VALU_DEP_1)
	v_lshlrev_b32_e32 v4, v4, v14
	v_cmp_ne_u32_e64 s0, v4, v13
	s_wait_alu 0xf1ff
	s_delay_alu instid0(VALU_DEP_1) | instskip(SKIP_1) | instid1(VALU_DEP_2)
	v_cndmask_b32_e64 v4, 0, 1, s0
	v_cmp_gt_i32_e64 s0, 1, v17
	v_or_b32_e32 v4, v14, v4
	v_mad_co_u64_u32 v[14:15], null, s6, v33, 0
	s_wait_alu 0xf1ff
	s_delay_alu instid0(VALU_DEP_2) | instskip(SKIP_3) | instid1(VALU_DEP_4)
	v_cndmask_b32_e64 v4, v12, v4, s0
	v_cvt_f64_f32_e32 v[12:13], v1
	v_lshrrev_b32_e32 v1, v3, v18
	v_mul_f64_e32 v[10:11], s[10:11], v[10:11]
	v_and_b32_e32 v19, 7, v4
	v_lshrrev_b32_e32 v16, 2, v4
	s_delay_alu instid0(VALU_DEP_4) | instskip(NEXT) | instid1(VALU_DEP_3)
	v_lshlrev_b32_e32 v3, v3, v1
	v_cmp_lt_i32_e64 s0, 5, v19
	s_delay_alu instid0(VALU_DEP_2) | instskip(SKIP_4) | instid1(VALU_DEP_2)
	v_cmp_ne_u32_e64 s1, v3, v18
	ds_load_2addr_stride64_b32 v[3:4], v73 offset0:84 offset1:92
	s_wait_alu 0xf1ff
	v_cndmask_b32_e64 v18, 0, 1, s1
	v_cmp_eq_u32_e64 s1, 3, v19
	v_or_b32_e32 v1, v1, v18
	s_delay_alu instid0(VALU_DEP_2)
	s_or_b32 s0, s1, s0
	v_lshl_or_b32 v18, v20, 12, v6
	s_wait_alu 0xfffe
	v_add_co_ci_u32_e64 v16, s0, 0, v16, s0
	v_cmp_ne_u32_e64 s0, 0, v8
	s_wait_alu 0xf1ff
	s_delay_alu instid0(VALU_DEP_1) | instskip(SKIP_3) | instid1(VALU_DEP_3)
	v_cndmask_b32_e64 v8, 0, 1, s0
	v_cmp_gt_i32_e64 s0, 1, v20
	s_wait_dscnt 0x0
	v_lshrrev_b32_e32 v22, 16, v3
	v_lshl_or_b32 v8, v8, 9, 0x7c00
	s_wait_alu 0xf1ff
	v_cndmask_b32_e64 v18, v18, v1, s0
	v_mov_b32_e32 v1, v15
	v_cmp_gt_i32_e64 s0, 31, v17
	v_mul_f64_e32 v[12:13], s[10:11], v[12:13]
	v_and_or_b32 v10, 0x1ff, v11, v10
	v_and_b32_e32 v21, 7, v18
	s_wait_alu 0xf1ff
	v_cndmask_b32_e64 v19, 0x7c00, v16, s0
	v_cmp_eq_u32_e64 s0, 0x40f, v17
	v_mad_co_u64_u32 v[15:16], null, s7, v33, v[1:2]
	v_cmp_eq_u32_e64 s1, 3, v21
	v_lshrrev_b32_e32 v1, 2, v18
	s_wait_alu 0xf1ff
	v_cndmask_b32_e64 v8, v19, v8, s0
	v_cmp_lt_i32_e64 s0, 5, v21
	v_mul_f16_e32 v16, v109, v22
	v_lshrrev_b32_e32 v17, 8, v11
	v_bfe_u32 v21, v11, 20, 11
	v_mad_co_u64_u32 v[18:19], null, s4, v0, 0
	s_or_b32 s0, s1, s0
	v_fmac_f16_e32 v16, v108, v3
	s_wait_alu 0xfffe
	v_add_co_ci_u32_e64 v1, s0, 0, v1, s0
	v_cmp_ne_u32_e64 s0, 0, v6
	v_and_or_b32 v8, 0x8000, v9, v8
	v_cvt_f32_f16_e32 v16, v16
	v_mul_f16_e32 v3, v109, v3
	v_lshlrev_b64_e32 v[14:15], 2, v[14:15]
	s_wait_alu 0xf1ff
	v_cndmask_b32_e64 v6, 0, 1, s0
	v_cmp_ne_u32_e64 s0, 0, v10
	v_lshrrev_b32_e32 v11, 16, v11
	v_fma_f16 v3, v108, v22, -v3
	s_delay_alu instid0(VALU_DEP_4) | instskip(SKIP_4) | instid1(VALU_DEP_3)
	v_lshl_or_b32 v6, v6, 9, 0x7c00
	s_wait_alu 0xf1ff
	v_cndmask_b32_e64 v10, 0, 1, s0
	v_cmp_gt_i32_e64 s0, 31, v20
	v_cvt_f32_f16_e32 v3, v3
	v_and_or_b32 v23, 0xffe, v17, v10
	v_sub_nc_u32_e32 v10, 0x3f1, v21
	v_cvt_f64_f32_e32 v[16:17], v16
	s_wait_alu 0xf1ff
	v_cndmask_b32_e64 v1, 0x7c00, v1, s0
	v_cmp_eq_u32_e64 s0, 0x40f, v20
	v_or_b32_e32 v24, 0x1000, v23
	v_med3_i32 v10, v10, 0, 13
	s_wait_alu 0xf1ff
	s_delay_alu instid0(VALU_DEP_3) | instskip(SKIP_1) | instid1(VALU_DEP_3)
	v_cndmask_b32_e64 v6, v1, v6, s0
	v_mov_b32_e32 v1, v19
	v_lshrrev_b32_e32 v20, v10, v24
	s_delay_alu instid0(VALU_DEP_3) | instskip(NEXT) | instid1(VALU_DEP_3)
	v_and_or_b32 v25, 0x8000, v7, v6
	v_mad_co_u64_u32 v[6:7], null, s5, v0, v[1:2]
	s_delay_alu instid0(VALU_DEP_3)
	v_lshlrev_b32_e32 v9, v10, v20
	v_and_or_b32 v0, 0x1ff, v13, v12
	v_add_nc_u32_e32 v12, 0xfffffc10, v21
	v_lshrrev_b32_e32 v7, 8, v13
	v_bfe_u32 v21, v13, 20, 11
	v_cmp_ne_u32_e64 s0, v9, v24
	v_and_b32_e32 v26, 0xffff, v8
	v_lshl_or_b32 v9, v12, 12, v23
	s_delay_alu instid0(VALU_DEP_4) | instskip(SKIP_3) | instid1(VALU_DEP_2)
	v_sub_nc_u32_e32 v19, 0x3f1, v21
	s_wait_alu 0xf1ff
	v_cndmask_b32_e64 v1, 0, 1, s0
	v_cmp_ne_u32_e64 s0, 0, v0
	v_or_b32_e32 v8, v20, v1
	s_wait_alu 0xf1ff
	s_delay_alu instid0(VALU_DEP_2) | instskip(SKIP_1) | instid1(VALU_DEP_2)
	v_cndmask_b32_e64 v0, 0, 1, s0
	v_cmp_gt_i32_e64 s0, 1, v12
	v_and_or_b32 v20, 0xffe, v7, v0
	ds_load_2addr_stride64_b32 v[0:1], v73 offset0:116 offset1:126
	s_wait_alu 0xf1ff
	v_cndmask_b32_e64 v22, v9, v8, s0
	v_cvt_f64_f32_e32 v[7:8], v3
	v_mul_f64_e32 v[9:10], s[10:11], v[16:17]
	v_or_b32_e32 v3, 0x1000, v20
	v_med3_i32 v16, v19, 0, 13
	v_dual_mov_b32 v19, v6 :: v_dual_and_b32 v6, 7, v22
	v_lshl_or_b32 v24, v25, 16, v26
	v_add_co_u32 v25, s0, s8, v14
	s_delay_alu instid0(VALU_DEP_4)
	v_lshrrev_b32_e32 v17, v16, v3
	s_wait_alu 0xf1ff
	v_add_co_ci_u32_e64 v26, s0, s9, v15, s0
	v_cmp_lt_i32_e64 s0, 5, v6
	v_cmp_eq_u32_e64 s1, 3, v6
	v_lshlrev_b32_e32 v16, v16, v17
	v_lshrrev_b32_e32 v6, 2, v22
	v_lshlrev_b64_e32 v[14:15], 2, v[18:19]
	v_add_nc_u32_e32 v19, 0xfffffc10, v21
	s_wait_dscnt 0x0
	v_lshrrev_b32_e32 v18, 16, v1
	v_cmp_ne_u32_e64 s2, v16, v3
	s_or_b32 s0, s1, s0
	s_wait_alu 0xfffe
	v_add_co_ci_u32_e64 v6, s0, 0, v6, s0
	s_delay_alu instid0(VALU_DEP_2) | instskip(SKIP_2) | instid1(VALU_DEP_3)
	v_cndmask_b32_e64 v3, 0, 1, s2
	v_cmp_ne_u32_e64 s0, 0, v23
	v_mul_f16_e32 v16, v107, v18
	v_or_b32_e32 v3, v17, v3
	v_lshl_or_b32 v17, v19, 12, v20
	s_wait_alu 0xf1ff
	v_cndmask_b32_e64 v21, 0, 1, s0
	v_cmp_gt_i32_e64 s0, 1, v19
	v_fmac_f16_e32 v16, v106, v1
	v_mul_f16_e32 v1, v107, v1
	s_delay_alu instid0(VALU_DEP_4)
	v_lshl_or_b32 v21, v21, 9, 0x7c00
	s_wait_alu 0xf1ff
	v_cndmask_b32_e64 v3, v17, v3, s0
	v_cmp_gt_i32_e64 s0, 31, v12
	v_cvt_f32_f16_e32 v16, v16
	v_and_or_b32 v27, 0x1ff, v10, v9
	v_fma_f16 v1, v106, v18, -v1
	v_and_b32_e32 v23, 7, v3
	s_wait_alu 0xf1ff
	v_cndmask_b32_e64 v22, 0x7c00, v6, s0
	v_mul_f64_e32 v[6:7], s[10:11], v[7:8]
	v_cvt_f64_f32_e32 v[16:17], v16
	v_add_co_u32 v8, s0, v25, v14
	s_wait_alu 0xf1ff
	v_add_co_ci_u32_e64 v9, s0, v26, v15, s0
	v_cmp_eq_u32_e64 s0, 0x40f, v12
	v_cmp_ne_u32_e64 s1, 0, v27
	v_lshrrev_b32_e32 v15, 8, v10
	v_lshrrev_b32_e32 v3, 2, v3
	v_cvt_f32_f16_e32 v1, v1
	s_wait_alu 0xf1ff
	v_cndmask_b32_e64 v12, v22, v21, s0
	v_cndmask_b32_e64 v14, 0, 1, s1
	v_bfe_u32 v21, v10, 20, 11
	v_cmp_lt_i32_e64 s0, 5, v23
	v_cmp_eq_u32_e64 s1, 3, v23
	v_and_or_b32 v23, 0x8000, v11, v12
	v_and_or_b32 v15, 0xffe, v15, v14
	v_sub_nc_u32_e32 v14, 0x3f1, v21
	global_store_b32 v[8:9], v24, off
	s_or_b32 s0, s1, s0
	s_wait_alu 0xfffe
	v_add_co_ci_u32_e64 v3, s0, 0, v3, s0
	v_cmp_ne_u32_e64 s0, 0, v20
	v_or_b32_e32 v22, 0x1000, v15
	v_med3_i32 v14, v14, 0, 13
	s_wait_alu 0xf1ff
	s_delay_alu instid0(VALU_DEP_3) | instskip(SKIP_1) | instid1(VALU_DEP_3)
	v_cndmask_b32_e64 v20, 0, 1, s0
	v_cmp_gt_i32_e64 s0, 31, v19
	v_lshrrev_b32_e32 v18, v14, v22
	s_delay_alu instid0(VALU_DEP_3) | instskip(SKIP_1) | instid1(VALU_DEP_3)
	v_lshl_or_b32 v20, v20, 9, 0x7c00
	s_wait_alu 0xf1ff
	v_cndmask_b32_e64 v3, 0x7c00, v3, s0
	v_cmp_eq_u32_e64 s0, 0x40f, v19
	v_lshlrev_b32_e32 v19, v14, v18
	v_and_or_b32 v6, 0x1ff, v7, v6
	v_mul_f64_e32 v[11:12], s[10:11], v[16:17]
	v_add_nc_u32_e32 v17, 0xfffffc10, v21
	s_wait_alu 0xf1ff
	v_cndmask_b32_e64 v3, v3, v20, s0
	v_cmp_ne_u32_e64 s0, v19, v22
	v_lshrrev_b32_e32 v20, 16, v13
	v_cvt_f64_f32_e32 v[13:14], v1
	v_lshrrev_b32_e32 v16, 8, v7
	v_bfe_u32 v19, v7, 20, 11
	s_wait_alu 0xf1ff
	v_cndmask_b32_e64 v1, 0, 1, s0
	v_cmp_ne_u32_e64 s0, 0, v6
	v_and_or_b32 v3, 0x8000, v20, v3
	v_lshrrev_b32_e32 v7, 16, v7
	s_delay_alu instid0(VALU_DEP_4) | instskip(SKIP_4) | instid1(VALU_DEP_3)
	v_or_b32_e32 v1, v18, v1
	s_wait_alu 0xf1ff
	v_cndmask_b32_e64 v6, 0, 1, s0
	v_lshl_or_b32 v18, v17, 12, v15
	v_cmp_gt_i32_e64 s0, 1, v17
	v_and_or_b32 v6, 0xffe, v16, v6
	v_sub_nc_u32_e32 v16, 0x3f1, v19
	s_wait_alu 0xf1ff
	s_delay_alu instid0(VALU_DEP_3)
	v_cndmask_b32_e64 v1, v18, v1, s0
	v_and_b32_e32 v18, 0xffff, v23
	s_mul_u64 s[0:1], s[4:5], 0xa80
	v_or_b32_e32 v20, 0x1000, v6
	v_med3_i32 v16, v16, 0, 13
	v_and_b32_e32 v21, 7, v1
	v_lshl_or_b32 v3, v3, 16, v18
	s_wait_alu 0xfffe
	s_lshl_b64 s[6:7], s[0:1], 2
	v_lshrrev_b32_e32 v1, 2, v1
	v_lshrrev_b32_e32 v18, v16, v20
	v_cmp_lt_i32_e64 s0, 5, v21
	v_cmp_eq_u32_e64 s1, 3, v21
	v_add_nc_u32_e32 v19, 0xfffffc10, v19
	s_wait_alu 0xfffe
	v_add_co_u32 v8, s2, v8, s6
	v_lshlrev_b32_e32 v16, v16, v18
	s_or_b32 s0, s1, s0
	v_and_or_b32 v11, 0x1ff, v12, v11
	s_wait_alu 0xfffe
	v_add_co_ci_u32_e64 v1, s0, 0, v1, s0
	v_cmp_ne_u32_e64 s0, v16, v20
	v_lshrrev_b32_e32 v20, 16, v5
	v_mul_f64_e32 v[13:14], s[10:11], v[13:14]
	v_lshrrev_b32_e32 v22, 8, v12
	v_bfe_u32 v23, v12, 20, 11
	s_wait_alu 0xf1ff
	v_cndmask_b32_e64 v16, 0, 1, s0
	v_cmp_gt_i32_e64 s0, 31, v17
	v_mul_f16_e32 v21, v105, v20
	v_add_co_ci_u32_e64 v9, s2, s7, v9, s2
	s_delay_alu instid0(VALU_DEP_4)
	v_or_b32_e32 v16, v18, v16
	s_wait_alu 0xf1ff
	v_cndmask_b32_e64 v1, 0x7c00, v1, s0
	v_cmp_ne_u32_e64 s0, 0, v11
	v_lshl_or_b32 v18, v19, 12, v6
	v_fmac_f16_e32 v21, v103, v5
	v_cmp_eq_u32_e64 s2, 0x40f, v17
	v_mul_f16_e32 v5, v105, v5
	s_wait_alu 0xf1ff
	v_cndmask_b32_e64 v11, 0, 1, s0
	v_cmp_gt_i32_e64 s0, 1, v19
	s_delay_alu instid0(VALU_DEP_3) | instskip(NEXT) | instid1(VALU_DEP_3)
	v_fma_f16 v5, v103, v20, -v5
	v_and_or_b32 v22, 0xffe, v22, v11
	s_wait_alu 0xf1ff
	s_delay_alu instid0(VALU_DEP_3)
	v_cndmask_b32_e64 v18, v18, v16, s0
	v_sub_nc_u32_e32 v11, 0x3f1, v23
	v_cmp_ne_u32_e64 s0, 0, v15
	v_cvt_f32_f16_e32 v16, v21
	v_or_b32_e32 v25, 0x1000, v22
	v_and_b32_e32 v24, 7, v18
	v_med3_i32 v11, v11, 0, 13
	s_wait_alu 0xf1ff
	v_cndmask_b32_e64 v21, 0, 1, s0
	v_cvt_f64_f32_e32 v[15:16], v16
	v_lshrrev_b32_e32 v17, 2, v18
	v_cmp_lt_i32_e64 s0, 5, v24
	v_cmp_eq_u32_e64 s1, 3, v24
	v_lshrrev_b32_e32 v24, v11, v25
	v_lshrrev_b32_e32 v18, 16, v10
	v_lshl_or_b32 v21, v21, 9, 0x7c00
	v_cvt_f32_f16_e32 v5, v5
	s_or_b32 s0, s1, s0
	v_lshlrev_b32_e32 v10, v11, v24
	s_wait_alu 0xfffe
	v_add_co_ci_u32_e64 v11, s0, 0, v17, s0
	v_and_or_b32 v13, 0x1ff, v14, v13
	v_add_nc_u32_e32 v17, 0xfffffc10, v23
	v_cmp_ne_u32_e64 s0, v10, v25
	v_cndmask_b32_e64 v1, v1, v21, s2
	v_bfe_u32 v25, v14, 20, 11
	s_delay_alu instid0(VALU_DEP_4) | instskip(SKIP_4) | instid1(VALU_DEP_3)
	v_lshl_or_b32 v23, v17, 12, v22
	s_wait_alu 0xf1ff
	v_cndmask_b32_e64 v10, 0, 1, s0
	v_cmp_gt_i32_e64 s0, 31, v19
	v_and_or_b32 v1, 0x8000, v18, v1
	v_or_b32_e32 v21, v24, v10
	s_wait_alu 0xf1ff
	s_delay_alu instid0(VALU_DEP_3)
	v_cndmask_b32_e64 v20, 0x7c00, v11, s0
	v_cmp_ne_u32_e64 s0, 0, v13
	v_cvt_f64_f32_e32 v[10:11], v5
	v_lshrrev_b32_e32 v24, 8, v14
	v_and_b32_e32 v1, 0xffff, v1
	v_lshrrev_b32_e32 v14, 16, v14
	s_wait_alu 0xf1ff
	v_cndmask_b32_e64 v13, 0, 1, s0
	v_cmp_ne_u32_e64 s0, 0, v6
	v_sub_nc_u32_e32 v6, 0x3f1, v25
	s_delay_alu instid0(VALU_DEP_3) | instskip(SKIP_1) | instid1(VALU_DEP_3)
	v_and_or_b32 v24, 0xffe, v24, v13
	s_wait_alu 0xf1ff
	v_cndmask_b32_e64 v5, 0, 1, s0
	v_cmp_gt_i32_e64 s0, 1, v17
	v_mul_f64_e32 v[15:16], s[10:11], v[15:16]
	s_delay_alu instid0(VALU_DEP_3) | instskip(SKIP_1) | instid1(VALU_DEP_3)
	v_lshl_or_b32 v5, v5, 9, 0x7c00
	s_wait_alu 0xf1ff
	v_cndmask_b32_e64 v13, v23, v21, s0
	v_or_b32_e32 v21, 0x1000, v24
	v_med3_i32 v23, v6, 0, 13
	v_cmp_eq_u32_e64 s0, 0x40f, v19
	s_delay_alu instid0(VALU_DEP_4) | instskip(SKIP_2) | instid1(VALU_DEP_3)
	v_and_b32_e32 v26, 7, v13
	v_lshrrev_b32_e32 v13, 2, v13
	s_wait_alu 0xf1ff
	v_cndmask_b32_e64 v19, v20, v5, s0
	v_lshrrev_b32_e32 v20, v23, v21
	v_cmp_lt_i32_e64 s0, 5, v26
	v_cmp_eq_u32_e64 s1, 3, v26
	ds_load_2addr_stride64_b32 v[5:6], v73 offset0:50 offset1:58
	v_and_or_b32 v7, 0x8000, v7, v19
	v_lshlrev_b32_e32 v18, v23, v20
	v_add_nc_u32_e32 v19, 0xfffffc10, v25
	s_or_b32 s0, s1, s0
	s_wait_alu 0xfffe
	v_add_co_ci_u32_e64 v13, s0, 0, v13, s0
	v_cmp_ne_u32_e64 s0, v18, v21
	v_lshl_or_b32 v1, v7, 16, v1
	v_mul_f64_e32 v[10:11], s[10:11], v[10:11]
	s_wait_alu 0xf1ff
	s_delay_alu instid0(VALU_DEP_3) | instskip(SKIP_1) | instid1(VALU_DEP_2)
	v_cndmask_b32_e64 v18, 0, 1, s0
	v_cmp_gt_i32_e64 s0, 31, v17
	v_or_b32_e32 v18, v20, v18
	s_wait_alu 0xf1ff
	s_delay_alu instid0(VALU_DEP_2)
	v_cndmask_b32_e64 v13, 0x7c00, v13, s0
	v_cmp_ne_u32_e64 s0, 0, v22
	v_lshl_or_b32 v20, v19, 12, v24
	s_wait_dscnt 0x0
	v_lshrrev_b32_e32 v22, 16, v5
	v_bfe_u32 v23, v16, 20, 11
	s_wait_alu 0xf1ff
	v_cndmask_b32_e64 v21, 0, 1, s0
	v_cmp_gt_i32_e64 s0, 1, v19
	v_mul_f16_e32 v7, v104, v22
	s_wait_alu 0xf1ff
	s_delay_alu instid0(VALU_DEP_2)
	v_cndmask_b32_e64 v18, v20, v18, s0
	v_lshl_or_b32 v20, v21, 9, 0x7c00
	v_cmp_eq_u32_e64 s0, 0x40f, v17
	v_fmac_f16_e32 v7, v101, v5
	v_mul_f16_e32 v5, v104, v5
	v_and_b32_e32 v21, 7, v18
	s_wait_alu 0xf1ff
	v_cndmask_b32_e64 v17, v13, v20, s0
	v_lshrrev_b32_e32 v20, 16, v12
	v_and_or_b32 v12, 0x1ff, v16, v15
	v_cmp_lt_i32_e64 s0, 5, v21
	v_cmp_eq_u32_e64 s1, 3, v21
	v_cvt_f32_f16_e32 v7, v7
	v_lshrrev_b32_e32 v15, 2, v18
	v_cmp_ne_u32_e64 s2, 0, v12
	v_lshrrev_b32_e32 v21, 8, v16
	s_or_b32 s0, s1, s0
	v_cvt_f64_f32_e32 v[12:13], v7
	s_wait_alu 0xfffe
	v_add_co_ci_u32_e64 v7, s0, 0, v15, s0
	v_cndmask_b32_e64 v18, 0, 1, s2
	v_cmp_ne_u32_e64 s0, 0, v24
	v_fma_f16 v5, v101, v22, -v5
	v_and_or_b32 v10, 0x1ff, v11, v10
	v_and_or_b32 v17, 0x8000, v20, v17
	;; [unrolled: 1-line block ×3, first 2 shown]
	v_sub_nc_u32_e32 v18, 0x3f1, v23
	s_wait_alu 0xf1ff
	v_cndmask_b32_e64 v15, 0, 1, s0
	v_cmp_gt_i32_e64 s0, 31, v19
	v_cvt_f32_f16_e32 v5, v5
	v_or_b32_e32 v24, 0x1000, v21
	v_med3_i32 v18, v18, 0, 13
	v_lshl_or_b32 v15, v15, 9, 0x7c00
	s_wait_alu 0xf1ff
	v_cndmask_b32_e64 v7, 0x7c00, v7, s0
	v_cmp_eq_u32_e64 s0, 0x40f, v19
	v_bfe_u32 v22, v11, 20, 11
	v_lshrrev_b32_e32 v19, v18, v24
	v_add_nc_u32_e32 v23, 0xfffffc10, v23
	v_and_b32_e32 v20, 0xffff, v17
	s_wait_alu 0xf1ff
	v_cndmask_b32_e64 v7, v7, v15, s0
	v_cmp_ne_u32_e64 s0, 0, v10
	v_lshlrev_b32_e32 v18, v18, v19
	v_lshrrev_b32_e32 v10, 8, v11
	v_lshrrev_b32_e32 v16, 16, v16
	v_and_or_b32 v7, 0x8000, v14, v7
	v_cvt_f64_f32_e32 v[14:15], v5
	s_wait_alu 0xf1ff
	v_cndmask_b32_e64 v5, 0, 1, s0
	v_cmp_ne_u32_e64 s0, v18, v24
	v_lshl_or_b32 v24, v23, 12, v21
	v_lshl_or_b32 v7, v7, 16, v20
	s_delay_alu instid0(VALU_DEP_4)
	v_and_or_b32 v5, 0xffe, v10, v5
	s_wait_alu 0xf1ff
	v_cndmask_b32_e64 v18, 0, 1, s0
	v_add_co_u32 v17, s0, v8, s6
	v_sub_nc_u32_e32 v10, 0x3f1, v22
	v_or_b32_e32 v25, 0x1000, v5
	s_delay_alu instid0(VALU_DEP_4)
	v_or_b32_e32 v19, v19, v18
	s_wait_alu 0xf1ff
	v_add_co_ci_u32_e64 v18, s0, s7, v9, s0
	v_cmp_gt_i32_e64 s0, 1, v23
	v_med3_i32 v10, v10, 0, 13
	v_mul_f64_e32 v[12:13], s[10:11], v[12:13]
	s_clause 0x1
	global_store_b32 v[8:9], v3, off
	global_store_b32 v[17:18], v1, off
	s_wait_alu 0xf1ff
	v_cndmask_b32_e64 v24, v24, v19, s0
	v_lshrrev_b32_e32 v26, v10, v25
	v_add_co_u32 v19, s0, v17, s6
	s_wait_alu 0xf1ff
	v_add_co_ci_u32_e64 v20, s0, s7, v18, s0
	v_and_b32_e32 v27, 7, v24
	v_lshlrev_b32_e32 v1, v10, v26
	v_lshrrev_b32_e32 v3, 2, v24
	v_add_nc_u32_e32 v17, 0xfffffc10, v22
	global_store_b32 v[19:20], v7, off
	v_cmp_lt_i32_e64 s0, 5, v27
	v_cmp_eq_u32_e64 s1, 3, v27
	v_cmp_ne_u32_e64 s2, v1, v25
	v_lshl_or_b32 v9, v17, 12, v5
	s_delay_alu instid0(VALU_DEP_3) | instskip(NEXT) | instid1(VALU_DEP_2)
	s_or_b32 s0, s1, s0
	v_cndmask_b32_e64 v1, 0, 1, s2
	s_wait_alu 0xfffe
	v_add_co_ci_u32_e64 v3, s0, 0, v3, s0
	v_cmp_ne_u32_e64 s0, 0, v21
	v_mul_f64_e32 v[7:8], s[10:11], v[14:15]
	v_or_b32_e32 v1, v26, v1
	v_lshrrev_b32_e32 v14, 16, v4
	s_movk_i32 s2, 0xe280
	s_wait_alu 0xf1ff
	v_cndmask_b32_e64 v10, 0, 1, s0
	v_cmp_gt_i32_e64 s0, 1, v17
	s_mov_b32 s3, -1
	s_wait_alu 0xfffe
	s_mul_u64 s[4:5], s[4:5], s[2:3]
	v_lshl_or_b32 v10, v10, 9, 0x7c00
	v_cndmask_b32_e64 v1, v9, v1, s0
	v_mul_f16_e32 v9, v102, v14
	v_cmp_gt_i32_e64 s0, 31, v23
	v_and_or_b32 v12, 0x1ff, v13, v12
	v_lshrrev_b32_e32 v18, 8, v13
	v_and_b32_e32 v15, 7, v1
	v_fmac_f16_e32 v9, v99, v4
	s_wait_alu 0xf1ff
	v_cndmask_b32_e64 v3, 0x7c00, v3, s0
	v_cmp_eq_u32_e64 s0, 0x40f, v23
	v_cmp_ne_u32_e64 s1, 0, v12
	v_lshrrev_b32_e32 v1, 2, v1
	v_cvt_f32_f16_e32 v9, v9
	v_bfe_u32 v21, v13, 20, 11
	s_wait_alu 0xf1ff
	v_cndmask_b32_e64 v3, v3, v10, s0
	v_cmp_lt_i32_e64 s0, 5, v15
	v_cndmask_b32_e64 v12, 0, 1, s1
	v_cvt_f64_f32_e32 v[9:10], v9
	v_cmp_eq_u32_e64 s1, 3, v15
	v_and_or_b32 v3, 0x8000, v16, v3
	v_mul_f16_e32 v4, v102, v4
	v_and_or_b32 v15, 0xffe, v18, v12
	v_sub_nc_u32_e32 v12, 0x3f1, v21
	s_or_b32 s0, s1, s0
	v_and_b32_e32 v3, 0xffff, v3
	s_wait_alu 0xfffe
	v_add_co_ci_u32_e64 v1, s0, 0, v1, s0
	v_cmp_ne_u32_e64 s0, 0, v5
	v_or_b32_e32 v16, 0x1000, v15
	v_and_or_b32 v7, 0x1ff, v8, v7
	v_med3_i32 v12, v12, 0, 13
	v_fma_f16 v4, v99, v14, -v4
	s_wait_alu 0xf1ff
	v_cndmask_b32_e64 v5, 0, 1, s0
	v_cmp_gt_i32_e64 s0, 31, v17
	v_lshrrev_b32_e32 v22, 8, v8
	v_lshrrev_b32_e32 v18, v12, v16
	v_bfe_u32 v14, v8, 20, 11
	v_lshl_or_b32 v5, v5, 9, 0x7c00
	s_wait_alu 0xf1ff
	v_cndmask_b32_e64 v1, 0x7c00, v1, s0
	v_cmp_ne_u32_e64 s0, 0, v7
	v_cvt_f32_f16_e32 v4, v4
	v_lshrrev_b32_e32 v13, 16, v13
	s_lshl_b64 s[4:5], s[4:5], 2
	s_delay_alu instid0(VALU_DEP_3) | instskip(SKIP_2) | instid1(VALU_DEP_3)
	v_cndmask_b32_e64 v7, 0, 1, s0
	v_cmp_eq_u32_e64 s0, 0x40f, v17
	v_lshlrev_b32_e32 v17, v12, v18
	v_and_or_b32 v7, 0xffe, v22, v7
	s_wait_alu 0xf1ff
	s_delay_alu instid0(VALU_DEP_3)
	v_cndmask_b32_e64 v1, v1, v5, s0
	v_sub_nc_u32_e32 v5, 0x3f1, v14
	v_lshrrev_b32_e32 v22, 16, v11
	v_cvt_f64_f32_e32 v[11:12], v4
	v_cmp_ne_u32_e64 s0, v17, v16
	v_or_b32_e32 v23, 0x1000, v7
	v_med3_i32 v24, v5, 0, 13
	v_mul_f64_e32 v[9:10], s[10:11], v[9:10]
	v_add_nc_u32_e32 v16, 0xfffffc10, v21
	s_wait_alu 0xf1ff
	v_cndmask_b32_e64 v4, 0, 1, s0
	v_and_or_b32 v1, 0x8000, v22, v1
	v_lshrrev_b32_e32 v17, v24, v23
	v_lshl_or_b32 v21, v16, 12, v15
	s_delay_alu instid0(VALU_DEP_4) | instskip(SKIP_1) | instid1(VALU_DEP_4)
	v_or_b32_e32 v18, v18, v4
	v_cmp_gt_i32_e64 s0, 1, v16
	v_lshlrev_b32_e32 v22, v24, v17
	ds_load_2addr_stride64_b32 v[4:5], v73 offset0:134 offset1:142
	v_lshl_or_b32 v1, v1, 16, v3
	s_wait_alu 0xf1ff
	v_cndmask_b32_e64 v18, v21, v18, s0
	v_cmp_ne_u32_e64 s0, v22, v23
	v_add_nc_u32_e32 v22, 0xfffffc10, v14
	s_delay_alu instid0(VALU_DEP_3) | instskip(SKIP_1) | instid1(VALU_DEP_3)
	v_and_b32_e32 v14, 7, v18
	s_wait_alu 0xf1ff
	v_cndmask_b32_e64 v21, 0, 1, s0
	s_delay_alu instid0(VALU_DEP_3) | instskip(NEXT) | instid1(VALU_DEP_3)
	v_cmp_gt_i32_e64 s2, 1, v22
	v_cmp_lt_i32_e64 s0, 5, v14
	v_cmp_eq_u32_e64 s1, 3, v14
	v_lshrrev_b32_e32 v14, 2, v18
	v_or_b32_e32 v3, v17, v21
	v_lshl_or_b32 v17, v22, 12, v7
	s_delay_alu instid0(VALU_DEP_4) | instskip(SKIP_2) | instid1(VALU_DEP_2)
	s_or_b32 s0, s1, s0
	s_wait_alu 0xfffe
	v_add_co_ci_u32_e64 v14, s0, 0, v14, s0
	v_cndmask_b32_e64 v3, v17, v3, s2
	v_cmp_ne_u32_e64 s0, 0, v15
	s_wait_dscnt 0x0
	v_lshrrev_b32_e32 v17, 16, v4
	v_mul_f64_e32 v[11:12], s[10:11], v[11:12]
	v_and_b32_e32 v18, 7, v3
	s_wait_alu 0xf1ff
	v_cndmask_b32_e64 v15, 0, 1, s0
	v_cmp_gt_i32_e64 s0, 31, v16
	v_mul_f16_e32 v21, v100, v17
	v_and_or_b32 v9, 0x1ff, v10, v9
	v_cmp_eq_u32_e64 s1, 3, v18
	v_lshrrev_b32_e32 v3, 2, v3
	s_wait_alu 0xf1ff
	v_cndmask_b32_e64 v23, 0x7c00, v14, s0
	v_cmp_lt_i32_e64 s0, 5, v18
	v_fmac_f16_e32 v21, v97, v4
	v_cmp_ne_u32_e64 s2, 0, v9
	v_lshrrev_b32_e32 v18, 8, v10
	v_lshl_or_b32 v24, v15, 9, 0x7c00
	s_or_b32 s0, s1, s0
	v_cvt_f32_f16_e32 v14, v21
	s_wait_alu 0xfffe
	v_add_co_ci_u32_e64 v3, s0, 0, v3, s0
	v_cndmask_b32_e64 v9, 0, 1, s2
	v_bfe_u32 v21, v10, 20, 11
	v_cmp_ne_u32_e64 s0, 0, v7
	v_cvt_f64_f32_e32 v[14:15], v14
	v_mul_f16_e32 v4, v100, v4
	v_and_or_b32 v9, 0xffe, v18, v9
	v_sub_nc_u32_e32 v18, 0x3f1, v21
	s_wait_alu 0xf1ff
	v_cndmask_b32_e64 v7, 0, 1, s0
	v_cmp_gt_i32_e64 s0, 31, v22
	v_fma_f16 v4, v97, v17, -v4
	v_or_b32_e32 v25, 0x1000, v9
	v_med3_i32 v18, v18, 0, 13
	v_lshl_or_b32 v7, v7, 9, 0x7c00
	s_wait_alu 0xf1ff
	v_cndmask_b32_e64 v3, 0x7c00, v3, s0
	v_cmp_eq_u32_e64 s0, 0x40f, v16
	v_cvt_f32_f16_e32 v4, v4
	v_lshrrev_b32_e32 v10, 16, v10
	s_wait_alu 0xf1ff
	s_delay_alu instid0(VALU_DEP_3) | instskip(SKIP_2) | instid1(VALU_DEP_3)
	v_cndmask_b32_e64 v16, v23, v24, s0
	v_lshrrev_b32_e32 v23, v18, v25
	v_cmp_eq_u32_e64 s0, 0x40f, v22
	v_and_or_b32 v16, 0x8000, v13, v16
	v_lshrrev_b32_e32 v13, 8, v12
	s_wait_alu 0xf1ff
	s_delay_alu instid0(VALU_DEP_3) | instskip(SKIP_2) | instid1(VALU_DEP_2)
	v_cndmask_b32_e64 v3, v3, v7, s0
	v_lshrrev_b32_e32 v7, 16, v8
	v_lshlrev_b32_e32 v8, v18, v23
	v_and_or_b32 v18, 0x8000, v7, v3
	v_and_or_b32 v3, 0x1ff, v12, v11
	s_delay_alu instid0(VALU_DEP_3)
	v_cmp_ne_u32_e64 s0, v8, v25
	v_add_nc_u32_e32 v11, 0xfffffc10, v21
	v_bfe_u32 v21, v12, 20, 11
	v_and_b32_e32 v25, 0xffff, v16
	s_wait_alu 0xf1ff
	v_cndmask_b32_e64 v7, 0, 1, s0
	v_cmp_ne_u32_e64 s0, 0, v3
	v_sub_nc_u32_e32 v24, 0x3f1, v21
	v_lshl_or_b32 v22, v11, 12, v9
	v_lshl_or_b32 v25, v18, 16, v25
	v_or_b32_e32 v17, v23, v7
	s_wait_alu 0xf1ff
	v_cndmask_b32_e64 v3, 0, 1, s0
	v_cvt_f64_f32_e32 v[7:8], v4
	v_cmp_gt_i32_e64 s0, 1, v11
	v_med3_i32 v24, v24, 0, 13
	v_add_nc_u32_e32 v21, 0xfffffc10, v21
	v_and_or_b32 v23, 0xffe, v13, v3
	ds_load_2addr_stride64_b32 v[3:4], v73 offset0:16 offset1:24
	v_mul_f64_e32 v[13:14], s[10:11], v[14:15]
	s_wait_alu 0xf1ff
	v_cndmask_b32_e64 v22, v22, v17, s0
	v_add_co_u32 v15, s0, v19, s4
	v_or_b32_e32 v26, 0x1000, v23
	s_wait_alu 0xf1ff
	v_add_co_ci_u32_e64 v16, s0, s5, v20, s0
	v_and_b32_e32 v19, 7, v22
	v_add_co_u32 v17, s0, v15, s6
	v_lshrrev_b32_e32 v20, v24, v26
	s_wait_alu 0xf1ff
	v_add_co_ci_u32_e64 v18, s0, s7, v16, s0
	v_cmp_lt_i32_e64 s0, 5, v19
	v_cmp_eq_u32_e64 s1, 3, v19
	v_lshlrev_b32_e32 v24, v24, v20
	v_lshrrev_b32_e32 v19, 2, v22
	global_store_b32 v[15:16], v1, off
	global_store_b32 v[17:18], v25, off
	v_lshrrev_b32_e32 v25, 16, v6
	s_wait_dscnt 0x0
	v_lshrrev_b32_e32 v27, 16, v3
	v_cmp_ne_u32_e64 s2, v24, v26
	s_or_b32 s0, s1, s0
	s_wait_alu 0xfffe
	v_add_co_ci_u32_e64 v19, s0, 0, v19, s0
	s_delay_alu instid0(VALU_DEP_2) | instskip(SKIP_2) | instid1(VALU_DEP_3)
	v_cndmask_b32_e64 v22, 0, 1, s2
	v_mul_f16_e32 v24, v98, v27
	v_cmp_ne_u32_e64 s0, 0, v9
	v_or_b32_e32 v20, v20, v22
	s_delay_alu instid0(VALU_DEP_3)
	v_fmac_f16_e32 v24, v95, v3
	v_lshl_or_b32 v22, v21, 12, v23
	s_wait_alu 0xf1ff
	v_cndmask_b32_e64 v9, 0, 1, s0
	v_cmp_gt_i32_e64 s0, 1, v21
	v_mul_f64_e32 v[7:8], s[10:11], v[7:8]
	v_cvt_f32_f16_e32 v24, v24
	v_mul_f16_e32 v3, v98, v3
	v_and_or_b32 v13, 0x1ff, v14, v13
	s_wait_alu 0xf1ff
	v_cndmask_b32_e64 v22, v22, v20, s0
	v_cmp_gt_i32_e64 s0, 31, v11
	v_lshl_or_b32 v9, v9, 9, 0x7c00
	v_lshrrev_b32_e32 v28, 8, v14
	v_bfe_u32 v29, v14, 20, 11
	v_fma_f16 v3, v95, v27, -v3
	s_wait_alu 0xf1ff
	v_cndmask_b32_e64 v26, 0x7c00, v19, s0
	v_cvt_f64_f32_e32 v[19:20], v24
	v_cmp_ne_u32_e64 s0, 0, v13
	v_and_b32_e32 v24, 7, v22
	v_lshrrev_b32_e32 v22, 2, v22
	v_cvt_f32_f16_e32 v3, v3
	s_wait_alu 0xf1ff
	v_cndmask_b32_e64 v13, 0, 1, s0
	v_cmp_eq_u32_e64 s0, 0x40f, v11
	v_cmp_eq_u32_e64 s1, 3, v24
	v_sub_nc_u32_e32 v11, 0x3f1, v29
	s_delay_alu instid0(VALU_DEP_4)
	v_and_or_b32 v13, 0xffe, v28, v13
	s_wait_alu 0xf1ff
	v_cndmask_b32_e64 v9, v26, v9, s0
	v_cmp_lt_i32_e64 s0, 5, v24
	v_med3_i32 v11, v11, 0, 13
	v_or_b32_e32 v24, 0x1000, v13
	s_delay_alu instid0(VALU_DEP_4) | instskip(NEXT) | instid1(VALU_DEP_4)
	v_and_or_b32 v28, 0x8000, v10, v9
	s_or_b32 s0, s1, s0
	s_wait_alu 0xfffe
	v_add_co_ci_u32_e64 v22, s0, 0, v22, s0
	v_cmp_ne_u32_e64 s0, 0, v23
	v_lshrrev_b32_e32 v26, v11, v24
	s_wait_alu 0xf1ff
	s_delay_alu instid0(VALU_DEP_2) | instskip(SKIP_1) | instid1(VALU_DEP_3)
	v_cndmask_b32_e64 v23, 0, 1, s0
	v_cmp_gt_i32_e64 s0, 31, v21
	v_lshlrev_b32_e32 v9, v11, v26
	v_and_or_b32 v7, 0x1ff, v8, v7
	s_delay_alu instid0(VALU_DEP_4) | instskip(SKIP_4) | instid1(VALU_DEP_1)
	v_lshl_or_b32 v23, v23, 9, 0x7c00
	s_wait_alu 0xf1ff
	v_cndmask_b32_e64 v22, 0x7c00, v22, s0
	v_cmp_eq_u32_e64 s0, 0x40f, v21
	s_wait_alu 0xf1ff
	v_cndmask_b32_e64 v21, v22, v23, s0
	v_cmp_ne_u32_e64 s0, v9, v24
	v_mul_f64_e32 v[9:10], s[10:11], v[19:20]
	v_lshrrev_b32_e32 v22, 16, v12
	v_cvt_f64_f32_e32 v[11:12], v3
	v_add_nc_u32_e32 v24, 0xfffffc10, v29
	s_wait_alu 0xf1ff
	v_cndmask_b32_e64 v23, 0, 1, s0
	v_cmp_ne_u32_e64 s0, 0, v7
	v_lshrrev_b32_e32 v7, 8, v8
	v_bfe_u32 v19, v8, 20, 11
	v_and_or_b32 v20, 0x8000, v22, v21
	v_or_b32_e32 v21, v26, v23
	s_wait_alu 0xf1ff
	v_cndmask_b32_e64 v3, 0, 1, s0
	v_lshl_or_b32 v22, v24, 12, v13
	v_cmp_gt_i32_e64 s0, 1, v24
	v_and_b32_e32 v23, 0xffff, v28
	s_delay_alu instid0(VALU_DEP_4)
	v_and_or_b32 v3, 0xffe, v7, v3
	v_sub_nc_u32_e32 v7, 0x3f1, v19
	s_wait_alu 0xf1ff
	v_cndmask_b32_e64 v21, v22, v21, s0
	v_lshl_or_b32 v1, v20, 16, v23
	v_add_co_u32 v15, s0, v17, s6
	v_or_b32_e32 v22, 0x1000, v3
	v_med3_i32 v7, v7, 0, 13
	v_and_b32_e32 v20, 7, v21
	s_wait_alu 0xf1ff
	v_add_co_ci_u32_e64 v16, s0, s7, v18, s0
	v_lshrrev_b32_e32 v17, 2, v21
	v_lshrrev_b32_e32 v23, v7, v22
	v_cmp_lt_i32_e64 s0, 5, v20
	v_cmp_eq_u32_e64 s1, 3, v20
	v_mul_f16_e32 v18, v96, v25
	v_add_nc_u32_e32 v19, 0xfffffc10, v19
	v_lshlrev_b32_e32 v7, v7, v23
	global_store_b32 v[15:16], v1, off
	s_or_b32 s0, s1, s0
	v_fmac_f16_e32 v18, v93, v6
	s_wait_alu 0xfffe
	v_add_co_ci_u32_e64 v20, s0, 0, v17, s0
	v_cmp_ne_u32_e64 s2, v7, v22
	v_and_or_b32 v9, 0x1ff, v10, v9
	v_mul_f64_e32 v[11:12], s[10:11], v[11:12]
	v_lshl_or_b32 v21, v19, 12, v3
	v_cvt_f32_f16_e32 v17, v18
	s_wait_alu 0xf1ff
	v_cndmask_b32_e64 v7, 0, 1, s2
	v_cmp_ne_u32_e64 s0, 0, v9
	v_lshrrev_b32_e32 v22, 8, v10
	v_cmp_eq_u32_e64 s2, 0x40f, v24
	v_cvt_f64_f32_e32 v[17:18], v17
	v_or_b32_e32 v7, v23, v7
	s_wait_alu 0xf1ff
	v_cndmask_b32_e64 v9, 0, 1, s0
	v_cmp_gt_i32_e64 s0, 1, v19
	v_bfe_u32 v23, v10, 20, 11
	v_mul_f16_e32 v6, v96, v6
	s_delay_alu instid0(VALU_DEP_4)
	v_and_or_b32 v9, 0xffe, v22, v9
	s_wait_alu 0xf1ff
	v_cndmask_b32_e64 v7, v21, v7, s0
	v_cmp_ne_u32_e64 s0, 0, v13
	v_sub_nc_u32_e32 v21, 0x3f1, v23
	v_fma_f16 v6, v93, v25, -v6
	v_or_b32_e32 v26, 0x1000, v9
	v_and_b32_e32 v22, 7, v7
	s_wait_alu 0xf1ff
	v_cndmask_b32_e64 v13, 0, 1, s0
	v_cmp_gt_i32_e64 s0, 31, v24
	v_med3_i32 v21, v21, 0, 13
	v_lshrrev_b32_e32 v7, 2, v7
	v_cmp_eq_u32_e64 s1, 3, v22
	v_lshl_or_b32 v13, v13, 9, 0x7c00
	s_wait_alu 0xf1ff
	v_cndmask_b32_e64 v20, 0x7c00, v20, s0
	v_cmp_lt_i32_e64 s0, 5, v22
	v_lshrrev_b32_e32 v22, v21, v26
	v_add_nc_u32_e32 v23, 0xfffffc10, v23
	v_cvt_f32_f16_e32 v6, v6
	v_cndmask_b32_e64 v20, v20, v13, s2
	s_or_b32 s0, s1, s0
	v_lshlrev_b32_e32 v13, v21, v22
	s_wait_alu 0xfffe
	v_add_co_ci_u32_e64 v7, s0, 0, v7, s0
	v_cmp_gt_i32_e64 s0, 31, v19
	v_and_or_b32 v11, 0x1ff, v12, v11
	v_lshrrev_b32_e32 v21, 16, v14
	v_lshl_or_b32 v24, v23, 12, v9
	v_bfe_u32 v25, v12, 20, 11
	s_wait_alu 0xf1ff
	v_cndmask_b32_e64 v7, 0x7c00, v7, s0
	v_cmp_ne_u32_e64 s0, v13, v26
	v_and_or_b32 v1, 0x8000, v21, v20
	v_cmp_eq_u32_e64 s2, 0x40f, v23
	s_wait_alu 0xf1ff
	s_delay_alu instid0(VALU_DEP_3) | instskip(SKIP_2) | instid1(VALU_DEP_3)
	v_cndmask_b32_e64 v13, 0, 1, s0
	v_cmp_ne_u32_e64 s0, 0, v3
	v_and_b32_e32 v1, 0xffff, v1
	v_or_b32_e32 v22, v22, v13
	s_wait_alu 0xf1ff
	s_delay_alu instid0(VALU_DEP_3)
	v_cndmask_b32_e64 v3, 0, 1, s0
	v_cmp_ne_u32_e64 s0, 0, v11
	v_mul_f64_e32 v[13:14], s[10:11], v[17:18]
	v_cvt_f64_f32_e32 v[17:18], v6
	v_lshrrev_b32_e32 v6, 8, v12
	v_lshl_or_b32 v3, v3, 9, 0x7c00
	s_wait_alu 0xf1ff
	v_cndmask_b32_e64 v11, 0, 1, s0
	v_cmp_gt_i32_e64 s0, 1, v23
	v_lshrrev_b32_e32 v12, 16, v12
	s_delay_alu instid0(VALU_DEP_3) | instskip(SKIP_1) | instid1(VALU_DEP_3)
	v_and_or_b32 v11, 0xffe, v6, v11
	s_wait_alu 0xf1ff
	v_cndmask_b32_e64 v22, v24, v22, s0
	v_sub_nc_u32_e32 v6, 0x3f1, v25
	v_cmp_eq_u32_e64 s0, 0x40f, v19
	s_delay_alu instid0(VALU_DEP_3) | instskip(NEXT) | instid1(VALU_DEP_3)
	v_lshrrev_b32_e32 v21, 2, v22
	v_med3_i32 v19, v6, 0, 13
	s_wait_alu 0xf1ff
	s_delay_alu instid0(VALU_DEP_3) | instskip(SKIP_3) | instid1(VALU_DEP_3)
	v_cndmask_b32_e64 v3, v7, v3, s0
	v_lshrrev_b32_e32 v7, 16, v8
	v_or_b32_e32 v8, 0x1000, v11
	v_and_b32_e32 v6, 7, v22
	v_and_or_b32 v3, 0x8000, v7, v3
	s_delay_alu instid0(VALU_DEP_3) | instskip(NEXT) | instid1(VALU_DEP_3)
	v_lshrrev_b32_e32 v20, v19, v8
	v_cmp_lt_i32_e64 s0, 5, v6
	v_cmp_eq_u32_e64 s1, 3, v6
	ds_load_2addr_stride64_b32 v[6:7], v73 offset0:100 offset1:108
	v_lshl_or_b32 v1, v3, 16, v1
	v_lshlrev_b32_e32 v19, v19, v20
	s_or_b32 s0, s1, s0
	s_wait_alu 0xfffe
	v_add_co_ci_u32_e64 v21, s0, 0, v21, s0
	s_delay_alu instid0(VALU_DEP_2) | instskip(SKIP_3) | instid1(VALU_DEP_3)
	v_cmp_ne_u32_e64 s0, v19, v8
	v_add_nc_u32_e32 v19, 0xfffffc10, v25
	v_and_or_b32 v13, 0x1ff, v14, v13
	s_wait_alu 0xf1ff
	v_cndmask_b32_e64 v8, 0, 1, s0
	v_cmp_gt_i32_e64 s0, 31, v23
	s_delay_alu instid0(VALU_DEP_2) | instskip(SKIP_1) | instid1(VALU_DEP_2)
	v_or_b32_e32 v20, v20, v8
	s_wait_alu 0xf1ff
	v_cndmask_b32_e64 v3, 0x7c00, v21, s0
	v_cmp_ne_u32_e64 s0, 0, v9
	v_lshl_or_b32 v21, v19, 12, v11
	v_mul_f64_e32 v[8:9], s[10:11], v[17:18]
	v_lshrrev_b32_e32 v18, 8, v14
	s_wait_alu 0xf1ff
	v_cndmask_b32_e64 v22, 0, 1, s0
	v_cmp_gt_i32_e64 s0, 1, v19
	s_delay_alu instid0(VALU_DEP_2) | instskip(SKIP_1) | instid1(VALU_DEP_2)
	v_lshl_or_b32 v22, v22, 9, 0x7c00
	s_wait_alu 0xf1ff
	v_cndmask_b32_e64 v17, v21, v20, s0
	v_cmp_ne_u32_e64 s0, 0, v13
	s_wait_dscnt 0x0
	v_lshrrev_b32_e32 v20, 16, v6
	v_bfe_u32 v21, v14, 20, 11
	v_cndmask_b32_e64 v3, v3, v22, s2
	v_and_b32_e32 v25, 7, v17
	s_wait_alu 0xf1ff
	v_cndmask_b32_e64 v13, 0, 1, s0
	v_mul_f16_e32 v24, v94, v20
	v_lshrrev_b32_e32 v22, 2, v17
	v_add_co_u32 v15, s2, v15, s6
	s_delay_alu instid0(VALU_DEP_4)
	v_and_or_b32 v26, 0xffe, v18, v13
	v_sub_nc_u32_e32 v13, 0x3f1, v21
	v_cmp_lt_i32_e64 s0, 5, v25
	v_cmp_eq_u32_e64 s1, 3, v25
	v_fmac_f16_e32 v24, v91, v6
	v_or_b32_e32 v25, 0x1000, v26
	v_med3_i32 v13, v13, 0, 13
	v_mul_f16_e32 v6, v94, v6
	s_or_b32 s0, s1, s0
	v_cvt_f32_f16_e32 v18, v24
	s_wait_alu 0xfffe
	v_add_co_ci_u32_e64 v22, s0, 0, v22, s0
	v_lshrrev_b32_e32 v23, v13, v25
	v_cmp_ne_u32_e64 s0, 0, v11
	v_cvt_f64_f32_e32 v[17:18], v18
	v_lshrrev_b32_e32 v24, 16, v10
	v_fma_f16 v6, v91, v20, -v6
	v_lshlrev_b32_e32 v10, v13, v23
	s_wait_alu 0xf1ff
	v_cndmask_b32_e64 v11, 0, 1, s0
	v_cmp_gt_i32_e64 s0, 31, v19
	v_and_or_b32 v8, 0x1ff, v9, v8
	v_add_nc_u32_e32 v21, 0xfffffc10, v21
	v_cvt_f32_f16_e32 v6, v6
	v_lshl_or_b32 v11, v11, 9, 0x7c00
	s_wait_alu 0xf1ff
	v_cndmask_b32_e64 v13, 0x7c00, v22, s0
	v_cmp_ne_u32_e64 s0, v10, v25
	v_lshl_or_b32 v20, v21, 12, v26
	v_lshrrev_b32_e32 v22, 8, v9
	v_and_or_b32 v3, 0x8000, v24, v3
	v_lshrrev_b32_e32 v14, 16, v14
	s_wait_alu 0xf1ff
	v_cndmask_b32_e64 v10, 0, 1, s0
	v_cmp_eq_u32_e64 s0, 0x40f, v19
	v_add_co_ci_u32_e64 v16, s2, s7, v16, s2
	v_and_b32_e32 v3, 0xffff, v3
	s_delay_alu instid0(VALU_DEP_4)
	v_or_b32_e32 v19, v23, v10
	s_wait_alu 0xf1ff
	v_cndmask_b32_e64 v13, v13, v11, s0
	v_cmp_ne_u32_e64 s0, 0, v8
	v_cvt_f64_f32_e32 v[10:11], v6
	v_bfe_u32 v23, v9, 20, 11
	v_lshrrev_b32_e32 v9, 16, v9
	s_wait_alu 0xf1ff
	v_cndmask_b32_e64 v8, 0, 1, s0
	v_cmp_gt_i32_e64 s0, 1, v21
	s_delay_alu instid0(VALU_DEP_2) | instskip(SKIP_1) | instid1(VALU_DEP_2)
	v_and_or_b32 v8, 0xffe, v22, v8
	s_wait_alu 0xf1ff
	v_cndmask_b32_e64 v6, v20, v19, s0
	v_sub_nc_u32_e32 v19, 0x3f1, v23
	v_and_or_b32 v22, 0x8000, v12, v13
	v_or_b32_e32 v24, 0x1000, v8
	s_delay_alu instid0(VALU_DEP_4) | instskip(NEXT) | instid1(VALU_DEP_4)
	v_and_b32_e32 v20, 7, v6
	v_med3_i32 v19, v19, 0, 13
	v_lshrrev_b32_e32 v6, 2, v6
	v_mul_f64_e32 v[12:13], s[10:11], v[17:18]
	v_lshl_or_b32 v3, v22, 16, v3
	v_cmp_lt_i32_e64 s0, 5, v20
	v_cmp_eq_u32_e64 s1, 3, v20
	v_lshrrev_b32_e32 v17, v19, v24
	v_add_nc_u32_e32 v22, 0xfffffc10, v23
	v_lshrrev_b32_e32 v23, 16, v5
	s_delay_alu instid0(VALU_DEP_4) | instskip(NEXT) | instid1(VALU_DEP_3)
	s_or_b32 s0, s1, s0
	v_lshlrev_b32_e32 v18, v19, v17
	s_wait_alu 0xfffe
	v_add_co_ci_u32_e64 v6, s0, 0, v6, s0
	v_cmp_ne_u32_e64 s0, 0, v26
	v_mul_f16_e32 v20, v92, v23
	s_wait_alu 0xf1ff
	s_delay_alu instid0(VALU_DEP_2) | instskip(SKIP_1) | instid1(VALU_DEP_3)
	v_cndmask_b32_e64 v19, 0, 1, s0
	v_cmp_ne_u32_e64 s0, v18, v24
	v_fmac_f16_e32 v20, v89, v5
	v_mul_f64_e32 v[10:11], s[10:11], v[10:11]
	v_mul_f16_e32 v5, v92, v5
	v_lshl_or_b32 v19, v19, 9, 0x7c00
	s_wait_alu 0xf1ff
	v_cndmask_b32_e64 v18, 0, 1, s0
	v_cmp_gt_i32_e64 s0, 31, v21
	v_fma_f16 v5, v89, v23, -v5
	s_delay_alu instid0(VALU_DEP_3) | instskip(SKIP_1) | instid1(VALU_DEP_3)
	v_or_b32_e32 v17, v17, v18
	s_wait_alu 0xf1ff
	v_cndmask_b32_e64 v6, 0x7c00, v6, s0
	v_lshl_or_b32 v18, v22, 12, v8
	v_cmp_gt_i32_e64 s0, 1, v22
	v_cvt_f32_f16_e32 v5, v5
	s_wait_alu 0xf1ff
	s_delay_alu instid0(VALU_DEP_2) | instskip(SKIP_1) | instid1(VALU_DEP_2)
	v_cndmask_b32_e64 v24, v18, v17, s0
	v_cmp_eq_u32_e64 s0, 0x40f, v21
	v_and_b32_e32 v21, 7, v24
	s_wait_alu 0xf1ff
	s_delay_alu instid0(VALU_DEP_2) | instskip(SKIP_4) | instid1(VALU_DEP_3)
	v_cndmask_b32_e64 v6, v6, v19, s0
	v_cvt_f32_f16_e32 v19, v20
	v_add_co_u32 v17, s0, v15, s4
	s_wait_alu 0xf1ff
	v_add_co_ci_u32_e64 v18, s0, s5, v16, s0
	v_cvt_f64_f32_e32 v[19:20], v19
	v_and_or_b32 v14, 0x8000, v14, v6
	v_and_or_b32 v6, 0x1ff, v13, v12
	v_cmp_lt_i32_e64 s0, 5, v21
	v_cmp_eq_u32_e64 s1, 3, v21
	v_lshrrev_b32_e32 v12, 2, v24
	v_lshrrev_b32_e32 v21, 8, v13
	v_cmp_ne_u32_e64 s2, 0, v6
	v_bfe_u32 v24, v13, 20, 11
	s_or_b32 s0, s1, s0
	v_and_or_b32 v10, 0x1ff, v11, v10
	s_wait_alu 0xfffe
	v_add_co_ci_u32_e64 v12, s0, 0, v12, s0
	v_cndmask_b32_e64 v6, 0, 1, s2
	v_cmp_ne_u32_e64 s0, 0, v8
	v_bfe_u32 v26, v11, 20, 11
	global_store_b32 v[15:16], v1, off
	global_store_b32 v[17:18], v3, off
	v_lshrrev_b32_e32 v16, 16, v4
	v_and_or_b32 v21, 0xffe, v21, v6
	v_sub_nc_u32_e32 v6, 0x3f1, v24
	s_wait_alu 0xf1ff
	v_cndmask_b32_e64 v8, 0, 1, s0
	v_cmp_gt_i32_e64 s0, 31, v22
	v_add_nc_u32_e32 v24, 0xfffffc10, v24
	v_or_b32_e32 v25, 0x1000, v21
	v_med3_i32 v6, v6, 0, 13
	v_lshl_or_b32 v8, v8, 9, 0x7c00
	s_wait_alu 0xf1ff
	v_cndmask_b32_e64 v12, 0x7c00, v12, s0
	v_cmp_eq_u32_e64 s0, 0x40f, v22
	v_lshrrev_b32_e32 v22, 8, v11
	v_lshrrev_b32_e32 v23, v6, v25
	s_wait_alu 0xf1ff
	s_delay_alu instid0(VALU_DEP_3) | instskip(SKIP_1) | instid1(VALU_DEP_3)
	v_cndmask_b32_e64 v8, v12, v8, s0
	v_cmp_ne_u32_e64 s0, 0, v10
	v_lshlrev_b32_e32 v12, v6, v23
	v_cvt_f64_f32_e32 v[5:6], v5
	s_delay_alu instid0(VALU_DEP_4)
	v_and_or_b32 v8, 0x8000, v9, v8
	s_wait_alu 0xf1ff
	v_cndmask_b32_e64 v10, 0, 1, s0
	v_cmp_ne_u32_e64 s0, v12, v25
	v_mul_f64_e32 v[19:20], s[10:11], v[19:20]
	v_and_b32_e32 v9, 0xffff, v14
	s_delay_alu instid0(VALU_DEP_4)
	v_and_or_b32 v10, 0xffe, v22, v10
	v_sub_nc_u32_e32 v22, 0x3f1, v26
	s_wait_alu 0xf1ff
	v_cndmask_b32_e64 v12, 0, 1, s0
	v_cmp_gt_i32_e64 s0, 1, v24
	v_lshl_or_b32 v1, v8, 16, v9
	v_or_b32_e32 v25, 0x1000, v10
	v_med3_i32 v22, v22, 0, 13
	v_or_b32_e32 v12, v23, v12
	v_lshl_or_b32 v23, v24, 12, v21
	s_delay_alu instid0(VALU_DEP_3) | instskip(SKIP_1) | instid1(VALU_DEP_2)
	v_lshrrev_b32_e32 v14, v22, v25
	s_wait_alu 0xf1ff
	v_cndmask_b32_e64 v12, v23, v12, s0
	v_add_co_u32 v8, s0, v17, s6
	s_delay_alu instid0(VALU_DEP_3)
	v_lshlrev_b32_e32 v15, v22, v14
	s_wait_alu 0xf1ff
	v_add_co_ci_u32_e64 v9, s0, s7, v18, s0
	v_and_b32_e32 v3, 7, v12
	v_lshrrev_b32_e32 v12, 2, v12
	v_cmp_ne_u32_e64 s1, v15, v25
	v_add_nc_u32_e32 v17, 0xfffffc10, v26
	v_lshrrev_b32_e32 v25, 16, v13
	v_cmp_lt_i32_e64 s0, 5, v3
	global_store_b32 v[8:9], v1, off
	s_wait_alu 0xf1ff
	v_cndmask_b32_e64 v15, 0, 1, s1
	v_cmp_eq_u32_e64 s1, 3, v3
	v_mul_f16_e32 v3, v90, v16
	v_mul_f64_e32 v[5:6], s[10:11], v[5:6]
	s_delay_alu instid0(VALU_DEP_4) | instskip(NEXT) | instid1(VALU_DEP_4)
	v_or_b32_e32 v14, v14, v15
	s_or_b32 s0, s1, s0
	v_lshl_or_b32 v15, v17, 12, v10
	s_wait_alu 0xfffe
	v_add_co_ci_u32_e64 v12, s0, 0, v12, s0
	v_cmp_gt_i32_e64 s0, 1, v17
	v_fmac_f16_e32 v3, v87, v4
	v_and_or_b32 v19, 0x1ff, v20, v19
	v_bfe_u32 v23, v20, 20, 11
	v_mul_f16_e32 v4, v90, v4
	s_wait_alu 0xf1ff
	v_cndmask_b32_e64 v18, v15, v14, s0
	v_cmp_gt_i32_e64 s0, 31, v24
	v_cvt_f32_f16_e32 v3, v3
	v_fma_f16 v4, v87, v16, -v4
	s_delay_alu instid0(VALU_DEP_4)
	v_and_b32_e32 v22, 7, v18
	s_wait_alu 0xf1ff
	v_cndmask_b32_e64 v12, 0x7c00, v12, s0
	v_cmp_ne_u32_e64 s0, 0, v19
	v_cvt_f64_f32_e32 v[14:15], v3
	v_lshrrev_b32_e32 v19, 8, v20
	v_cmp_eq_u32_e64 s1, 3, v22
	v_lshrrev_b32_e32 v18, 2, v18
	s_wait_alu 0xf1ff
	v_cndmask_b32_e64 v3, 0, 1, s0
	v_cmp_ne_u32_e64 s0, 0, v21
	v_cvt_f32_f16_e32 v4, v4
	v_lshrrev_b32_e32 v20, 16, v20
	s_delay_alu instid0(VALU_DEP_4)
	v_and_or_b32 v19, 0xffe, v19, v3
	s_wait_alu 0xf1ff
	v_cndmask_b32_e64 v21, 0, 1, s0
	v_cmp_lt_i32_e64 s0, 5, v22
	v_sub_nc_u32_e32 v3, 0x3f1, v23
	v_add_nc_u32_e32 v23, 0xfffffc10, v23
	v_or_b32_e32 v22, 0x1000, v19
	v_lshl_or_b32 v21, v21, 9, 0x7c00
	s_or_b32 s0, s1, s0
	v_med3_i32 v3, v3, 0, 13
	s_wait_alu 0xfffe
	v_add_co_ci_u32_e64 v18, s0, 0, v18, s0
	v_cmp_eq_u32_e64 s0, 0x40f, v24
	v_and_or_b32 v5, 0x1ff, v6, v5
	v_lshrrev_b32_e32 v24, v3, v22
	v_lshrrev_b32_e32 v16, 8, v6
	s_wait_alu 0xf1ff
	v_cndmask_b32_e64 v21, v12, v21, s0
	v_cmp_gt_i32_e64 s0, 31, v17
	v_lshlrev_b32_e32 v3, v3, v24
	s_delay_alu instid0(VALU_DEP_3) | instskip(SKIP_1) | instid1(VALU_DEP_3)
	v_and_or_b32 v1, 0x8000, v25, v21
	s_wait_alu 0xf1ff
	v_cndmask_b32_e64 v18, 0x7c00, v18, s0
	v_cmp_ne_u32_e64 s0, 0, v10
	v_lshrrev_b32_e32 v25, 16, v7
	v_and_b32_e32 v1, 0xffff, v1
	s_wait_alu 0xf1ff
	s_delay_alu instid0(VALU_DEP_3)
	v_cndmask_b32_e64 v10, 0, 1, s0
	v_cmp_ne_u32_e64 s0, v3, v22
	v_bfe_u32 v22, v6, 20, 11
	v_mul_f64_e32 v[12:13], s[10:11], v[14:15]
	v_cvt_f64_f32_e32 v[14:15], v4
	v_lshl_or_b32 v10, v10, 9, 0x7c00
	s_wait_alu 0xf1ff
	v_cndmask_b32_e64 v3, 0, 1, s0
	v_cmp_ne_u32_e64 s0, 0, v5
	v_sub_nc_u32_e32 v4, 0x3f1, v22
	v_add_nc_u32_e32 v21, 0xfffffc10, v22
	s_delay_alu instid0(VALU_DEP_4) | instskip(SKIP_4) | instid1(VALU_DEP_3)
	v_or_b32_e32 v3, v24, v3
	s_wait_alu 0xf1ff
	v_cndmask_b32_e64 v5, 0, 1, s0
	v_med3_i32 v4, v4, 0, 13
	v_cmp_eq_u32_e64 s0, 0x40f, v17
	v_and_or_b32 v5, 0xffe, v16, v5
	v_lshl_or_b32 v16, v23, 12, v19
	s_wait_alu 0xf1ff
	s_delay_alu instid0(VALU_DEP_3) | instskip(SKIP_3) | instid1(VALU_DEP_2)
	v_cndmask_b32_e64 v10, v18, v10, s0
	v_cmp_gt_i32_e64 s0, 1, v23
	v_or_b32_e32 v24, 0x1000, v5
	s_wait_alu 0xf1ff
	v_cndmask_b32_e64 v16, v16, v3, s0
	v_lshrrev_b32_e32 v3, 16, v11
	s_delay_alu instid0(VALU_DEP_3) | instskip(NEXT) | instid1(VALU_DEP_3)
	v_lshrrev_b32_e32 v17, v4, v24
	v_and_b32_e32 v11, 7, v16
	s_delay_alu instid0(VALU_DEP_3) | instskip(NEXT) | instid1(VALU_DEP_3)
	v_and_or_b32 v10, 0x8000, v3, v10
	v_lshlrev_b32_e32 v18, v4, v17
	ds_load_2addr_stride64_b32 v[3:4], v73 offset0:66 offset1:74
	v_cmp_lt_i32_e64 s0, 5, v11
	v_lshl_or_b32 v1, v10, 16, v1
	v_cmp_ne_u32_e64 s1, v18, v24
	v_lshrrev_b32_e32 v10, 2, v16
	v_lshl_or_b32 v16, v21, 12, v5
	v_and_or_b32 v12, 0x1ff, v13, v12
	s_wait_alu 0xf1ff
	v_cndmask_b32_e64 v18, 0, 1, s1
	v_cmp_eq_u32_e64 s1, 3, v11
	v_bfe_u32 v24, v13, 20, 11
	v_lshrrev_b32_e32 v22, 8, v13
	v_lshrrev_b32_e32 v13, 16, v13
	v_or_b32_e32 v11, v17, v18
	s_or_b32 s0, s1, s0
	s_wait_alu 0xfffe
	v_add_co_ci_u32_e64 v17, s0, 0, v10, s0
	v_cmp_ne_u32_e64 s0, 0, v19
	s_wait_dscnt 0x0
	v_lshrrev_b32_e32 v19, 16, v3
	s_wait_alu 0xf1ff
	s_delay_alu instid0(VALU_DEP_2) | instskip(SKIP_2) | instid1(VALU_DEP_1)
	v_cndmask_b32_e64 v18, 0, 1, s0
	v_cmp_gt_i32_e64 s0, 1, v21
	s_wait_alu 0xf1ff
	v_cndmask_b32_e64 v16, v16, v11, s0
	v_cmp_gt_i32_e64 s0, 31, v23
	v_mul_f64_e32 v[10:11], s[10:11], v[14:15]
	v_lshl_or_b32 v15, v18, 9, 0x7c00
	v_mul_f16_e32 v18, v88, v19
	s_wait_alu 0xf1ff
	v_cndmask_b32_e64 v14, 0x7c00, v17, s0
	v_cmp_ne_u32_e64 s0, 0, v12
	v_and_b32_e32 v17, 7, v16
	v_fmac_f16_e32 v18, v85, v3
	v_lshrrev_b32_e32 v16, 2, v16
	v_mul_f16_e32 v3, v88, v3
	s_wait_alu 0xf1ff
	v_cndmask_b32_e64 v12, 0, 1, s0
	v_cmp_eq_u32_e64 s0, 0x40f, v23
	v_cmp_eq_u32_e64 s1, 3, v17
	v_fma_f16 v3, v85, v19, -v3
	s_delay_alu instid0(VALU_DEP_4)
	v_and_or_b32 v12, 0xffe, v22, v12
	s_wait_alu 0xf1ff
	v_cndmask_b32_e64 v23, v14, v15, s0
	v_sub_nc_u32_e32 v14, 0x3f1, v24
	v_cvt_f32_f16_e32 v15, v18
	v_cmp_lt_i32_e64 s0, 5, v17
	v_or_b32_e32 v17, 0x1000, v12
	v_cvt_f32_f16_e32 v3, v3
	v_med3_i32 v18, v14, 0, 13
	v_cvt_f64_f32_e32 v[14:15], v15
	s_or_b32 s0, s1, s0
	v_lshrrev_b32_e32 v19, 16, v6
	s_wait_alu 0xfffe
	v_add_co_ci_u32_e64 v16, s0, 0, v16, s0
	v_cmp_ne_u32_e64 s0, 0, v5
	v_lshrrev_b32_e32 v22, v18, v17
	v_and_or_b32 v20, 0x8000, v20, v23
	s_wait_alu 0xf1ff
	s_delay_alu instid0(VALU_DEP_3) | instskip(SKIP_2) | instid1(VALU_DEP_3)
	v_cndmask_b32_e64 v5, 0, 1, s0
	v_cmp_gt_i32_e64 s0, 31, v21
	v_lshlrev_b32_e32 v18, v18, v22
	v_lshl_or_b32 v5, v5, 9, 0x7c00
	s_wait_alu 0xf1ff
	s_delay_alu instid0(VALU_DEP_3) | instskip(SKIP_3) | instid1(VALU_DEP_2)
	v_cndmask_b32_e64 v16, 0x7c00, v16, s0
	v_cmp_eq_u32_e64 s0, 0x40f, v21
	v_add_nc_u32_e32 v21, 0xfffffc10, v24
	s_wait_alu 0xf1ff
	v_cndmask_b32_e64 v16, v16, v5, s0
	v_and_or_b32 v5, 0x1ff, v11, v10
	v_cmp_ne_u32_e64 s0, v18, v17
	v_lshrrev_b32_e32 v18, 8, v11
	s_delay_alu instid0(VALU_DEP_4)
	v_and_or_b32 v16, 0x8000, v19, v16
	v_lshl_or_b32 v19, v21, 12, v12
	s_wait_alu 0xf1ff
	v_cndmask_b32_e64 v10, 0, 1, s0
	v_cmp_ne_u32_e64 s0, 0, v5
	v_cvt_f64_f32_e32 v[5:6], v3
	v_bfe_u32 v3, v11, 20, 11
	v_lshrrev_b32_e32 v11, 16, v11
	v_or_b32_e32 v10, v22, v10
	s_wait_alu 0xf1ff
	v_cndmask_b32_e64 v17, 0, 1, s0
	v_cmp_gt_i32_e64 s0, 1, v21
	v_mul_f64_e32 v[14:15], s[10:11], v[14:15]
	s_delay_alu instid0(VALU_DEP_3)
	v_and_or_b32 v22, 0xffe, v18, v17
	v_sub_nc_u32_e32 v17, 0x3f1, v3
	v_and_b32_e32 v18, 0xffff, v20
	s_wait_alu 0xf1ff
	v_cndmask_b32_e64 v10, v19, v10, s0
	v_add_co_u32 v8, s0, v8, s6
	v_or_b32_e32 v19, 0x1000, v22
	v_med3_i32 v20, v17, 0, 13
	s_wait_alu 0xf1ff
	v_add_co_ci_u32_e64 v9, s0, s7, v9, s0
	v_lshl_or_b32 v23, v16, 16, v18
	v_and_b32_e32 v18, 7, v10
	v_lshrrev_b32_e32 v24, v20, v19
	v_add_co_u32 v16, s0, v8, s6
	s_wait_alu 0xf1ff
	v_add_co_ci_u32_e64 v17, s0, s7, v9, s0
	s_delay_alu instid0(VALU_DEP_3)
	v_lshlrev_b32_e32 v20, v20, v24
	v_cmp_lt_i32_e64 s0, 5, v18
	v_cmp_eq_u32_e64 s1, 3, v18
	v_lshrrev_b32_e32 v10, 2, v10
	v_add_nc_u32_e32 v3, 0xfffffc10, v3
	v_cmp_ne_u32_e64 s2, v20, v19
	v_mul_f16_e32 v20, v86, v25
	s_or_b32 s0, s1, s0
	s_wait_alu 0xfffe
	v_add_co_ci_u32_e64 v10, s0, 0, v10, s0
	v_cndmask_b32_e64 v18, 0, 1, s2
	v_fmac_f16_e32 v20, v83, v7
	v_cmp_ne_u32_e64 s0, 0, v12
	v_lshl_or_b32 v26, v3, 12, v22
	v_mul_f16_e32 v7, v86, v7
	v_or_b32_e32 v24, v24, v18
	v_mul_f64_e32 v[18:19], s[10:11], v[5:6]
	s_wait_alu 0xf1ff
	v_cndmask_b32_e64 v5, 0, 1, s0
	v_cmp_gt_i32_e64 s0, 1, v3
	v_cvt_f32_f16_e32 v6, v20
	v_and_or_b32 v14, 0x1ff, v15, v14
	v_fma_f16 v7, v83, v25, -v7
	v_lshl_or_b32 v20, v5, 9, 0x7c00
	s_wait_alu 0xf1ff
	v_cndmask_b32_e64 v12, v26, v24, s0
	v_cmp_gt_i32_e64 s0, 31, v21
	v_cvt_f64_f32_e32 v[5:6], v6
	v_cmp_ne_u32_e64 s1, 0, v14
	v_bfe_u32 v26, v15, 20, 11
	v_and_b32_e32 v24, 7, v12
	s_wait_alu 0xf1ff
	v_cndmask_b32_e64 v10, 0x7c00, v10, s0
	v_cmp_eq_u32_e64 s0, 0x40f, v21
	v_cndmask_b32_e64 v14, 0, 1, s1
	v_lshrrev_b32_e32 v12, 2, v12
	v_cmp_eq_u32_e64 s1, 3, v24
	v_cvt_f32_f16_e32 v7, v7
	s_wait_alu 0xf1ff
	v_cndmask_b32_e64 v10, v10, v20, s0
	v_cmp_lt_i32_e64 s0, 5, v24
	v_lshrrev_b32_e32 v20, 8, v15
	v_lshrrev_b32_e32 v15, 16, v15
	s_delay_alu instid0(VALU_DEP_4) | instskip(NEXT) | instid1(VALU_DEP_4)
	v_and_or_b32 v10, 0x8000, v13, v10
	s_or_b32 s0, s1, s0
	s_delay_alu instid0(VALU_DEP_3)
	v_and_or_b32 v14, 0xffe, v20, v14
	s_wait_alu 0xfffe
	v_add_co_ci_u32_e64 v12, s0, 0, v12, s0
	v_sub_nc_u32_e32 v13, 0x3f1, v26
	v_cmp_ne_u32_e64 s0, 0, v22
	v_or_b32_e32 v22, 0x1000, v14
	v_and_b32_e32 v10, 0xffff, v10
	s_delay_alu instid0(VALU_DEP_4)
	v_med3_i32 v13, v13, 0, 13
	s_wait_alu 0xf1ff
	v_cndmask_b32_e64 v20, 0, 1, s0
	v_cmp_gt_i32_e64 s0, 31, v3
	v_and_or_b32 v18, 0x1ff, v19, v18
	v_lshrrev_b32_e32 v24, v13, v22
	s_delay_alu instid0(VALU_DEP_4)
	v_lshl_or_b32 v20, v20, 9, 0x7c00
	s_wait_alu 0xf1ff
	v_cndmask_b32_e64 v12, 0x7c00, v12, s0
	v_cmp_eq_u32_e64 s0, 0x40f, v3
	v_lshrrev_b32_e32 v27, 8, v19
	v_lshlrev_b32_e32 v25, v13, v24
	v_bfe_u32 v28, v19, 20, 11
	s_wait_alu 0xf1ff
	v_cndmask_b32_e64 v3, v12, v20, s0
	v_cmp_ne_u32_e64 s0, 0, v18
	v_cvt_f64_f32_e32 v[12:13], v7
	v_mul_f64_e32 v[20:21], s[10:11], v[5:6]
	ds_load_2addr_stride64_b32 v[5:6], v73 offset0:150 offset1:158
	v_and_or_b32 v3, 0x8000, v11, v3
	s_wait_alu 0xf1ff
	v_cndmask_b32_e64 v18, 0, 1, s0
	v_cmp_ne_u32_e64 s0, v25, v22
	v_add_nc_u32_e32 v22, 0xfffffc10, v26
	v_sub_nc_u32_e32 v25, 0x3f1, v28
	global_store_b32 v[8:9], v1, off
	global_store_b32 v[16:17], v23, off
	v_and_or_b32 v18, 0xffe, v27, v18
	s_wait_alu 0xf1ff
	v_cndmask_b32_e64 v7, 0, 1, s0
	v_cmp_gt_i32_e64 s0, 1, v22
	v_med3_i32 v25, v25, 0, 13
	v_lshl_or_b32 v1, v3, 16, v10
	v_or_b32_e32 v26, 0x1000, v18
	v_or_b32_e32 v7, v24, v7
	v_lshl_or_b32 v24, v22, 12, v14
	v_cmp_eq_u32_e64 s2, 0x40f, v22
	s_wait_alu 0xf1ff
	s_delay_alu instid0(VALU_DEP_2)
	v_cndmask_b32_e64 v11, v24, v7, s0
	v_lshrrev_b32_e32 v24, v25, v26
	s_wait_dscnt 0x0
	v_lshrrev_b32_e32 v23, 16, v5
	v_add_co_u32 v7, s0, v16, s4
	v_and_b32_e32 v3, 7, v11
	v_lshlrev_b32_e32 v9, v25, v24
	s_wait_alu 0xf1ff
	v_add_co_ci_u32_e64 v8, s0, s5, v17, s0
	v_mul_f16_e32 v16, v84, v23
	v_cmp_lt_i32_e64 s0, 5, v3
	v_cmp_ne_u32_e64 s1, v9, v26
	v_add_nc_u32_e32 v17, 0xfffffc10, v28
	global_store_b32 v[7:8], v1, off
	v_fmac_f16_e32 v16, v81, v5
	v_mul_f16_e32 v5, v84, v5
	s_wait_alu 0xf1ff
	v_cndmask_b32_e64 v9, 0, 1, s1
	v_cmp_eq_u32_e64 s1, 3, v3
	v_lshrrev_b32_e32 v3, 2, v11
	v_fma_f16 v5, v81, v23, -v5
	s_delay_alu instid0(VALU_DEP_4)
	v_or_b32_e32 v11, v24, v9
	v_mul_f64_e32 v[9:10], s[10:11], v[12:13]
	s_or_b32 s0, s1, s0
	v_lshl_or_b32 v24, v17, 12, v18
	s_wait_alu 0xfffe
	v_add_co_ci_u32_e64 v3, s0, 0, v3, s0
	v_and_or_b32 v13, 0x1ff, v21, v20
	v_cmp_gt_i32_e64 s0, 1, v17
	v_cvt_f32_f16_e32 v12, v16
	v_lshrrev_b32_e32 v20, 8, v21
	v_cvt_f32_f16_e32 v5, v5
	s_wait_alu 0xf1ff
	v_cndmask_b32_e64 v16, v24, v11, s0
	v_cmp_ne_u32_e64 s0, 0, v13
	v_cvt_f64_f32_e32 v[11:12], v12
	v_bfe_u32 v24, v21, 20, 11
	v_lshrrev_b32_e32 v21, 16, v21
	v_and_b32_e32 v25, 7, v16
	s_wait_alu 0xf1ff
	v_cndmask_b32_e64 v13, 0, 1, s0
	v_cmp_ne_u32_e64 s0, 0, v14
	v_lshrrev_b32_e32 v16, 2, v16
	v_cmp_eq_u32_e64 s1, 3, v25
	s_delay_alu instid0(VALU_DEP_4)
	v_and_or_b32 v20, 0xffe, v20, v13
	v_sub_nc_u32_e32 v13, 0x3f1, v24
	s_wait_alu 0xf1ff
	v_cndmask_b32_e64 v14, 0, 1, s0
	v_cmp_gt_i32_e64 s0, 31, v22
	v_add_nc_u32_e32 v24, 0xfffffc10, v24
	v_or_b32_e32 v26, 0x1000, v20
	v_med3_i32 v13, v13, 0, 13
	v_lshl_or_b32 v14, v14, 9, 0x7c00
	s_wait_alu 0xf1ff
	v_cndmask_b32_e64 v3, 0x7c00, v3, s0
	v_cmp_lt_i32_e64 s0, 5, v25
	v_lshrrev_b32_e32 v22, v13, v26
	s_delay_alu instid0(VALU_DEP_3) | instskip(NEXT) | instid1(VALU_DEP_3)
	v_cndmask_b32_e64 v3, v3, v14, s2
	s_or_b32 s0, s1, s0
	s_wait_alu 0xfffe
	v_add_co_ci_u32_e64 v14, s0, 0, v16, s0
	v_lshlrev_b32_e32 v13, v13, v22
	v_cmp_gt_i32_e64 s0, 31, v17
	v_and_or_b32 v9, 0x1ff, v10, v9
	v_lshrrev_b32_e32 v25, 8, v10
	v_and_or_b32 v3, 0x8000, v15, v3
	s_wait_alu 0xf1ff
	v_cndmask_b32_e64 v16, 0x7c00, v14, s0
	v_cmp_ne_u32_e64 s0, v13, v26
	v_bfe_u32 v26, v10, 20, 11
	v_cvt_f64_f32_e32 v[13:14], v5
	v_and_b32_e32 v3, 0xffff, v3
	v_mul_f64_e32 v[11:12], s[10:11], v[11:12]
	s_wait_alu 0xf1ff
	v_cndmask_b32_e64 v23, 0, 1, s0
	v_cmp_ne_u32_e64 s0, 0, v9
	s_delay_alu instid0(VALU_DEP_2) | instskip(SKIP_1) | instid1(VALU_DEP_2)
	v_or_b32_e32 v22, v22, v23
	s_wait_alu 0xf1ff
	v_cndmask_b32_e64 v9, 0, 1, s0
	v_cmp_ne_u32_e64 s0, 0, v18
	v_sub_nc_u32_e32 v18, 0x3f1, v26
	v_lshl_or_b32 v23, v24, 12, v20
	s_delay_alu instid0(VALU_DEP_4)
	v_and_or_b32 v9, 0xffe, v25, v9
	s_wait_alu 0xf1ff
	v_cndmask_b32_e64 v5, 0, 1, s0
	v_cmp_gt_i32_e64 s0, 1, v24
	v_med3_i32 v18, v18, 0, 13
	v_or_b32_e32 v25, 0x1000, v9
	s_delay_alu instid0(VALU_DEP_4) | instskip(SKIP_4) | instid1(VALU_DEP_3)
	v_lshl_or_b32 v5, v5, 9, 0x7c00
	s_wait_alu 0xf1ff
	v_cndmask_b32_e64 v22, v23, v22, s0
	v_cmp_eq_u32_e64 s0, 0x40f, v17
	v_lshrrev_b32_e32 v17, v18, v25
	v_and_b32_e32 v15, 7, v22
	s_wait_alu 0xf1ff
	s_delay_alu instid0(VALU_DEP_3)
	v_cndmask_b32_e64 v5, v16, v5, s0
	v_lshrrev_b32_e32 v16, 16, v19
	v_lshlrev_b32_e32 v1, v18, v17
	v_add_nc_u32_e32 v18, 0xfffffc10, v26
	v_cmp_lt_i32_e64 s0, 5, v15
	v_cmp_eq_u32_e64 s1, 3, v15
	v_lshrrev_b32_e32 v15, 2, v22
	v_cmp_ne_u32_e64 s2, v1, v25
	v_and_or_b32 v5, 0x8000, v16, v5
	v_lshl_or_b32 v16, v18, 12, v9
	s_or_b32 s0, s1, s0
	v_lshrrev_b32_e32 v19, 16, v2
	s_wait_alu 0xfffe
	v_add_co_ci_u32_e64 v15, s0, 0, v15, s0
	v_cndmask_b32_e64 v1, 0, 1, s2
	v_cmp_ne_u32_e64 s0, 0, v20
	v_mul_f64_e32 v[13:14], s[10:11], v[13:14]
	v_and_or_b32 v11, 0x1ff, v12, v11
	v_lshrrev_b32_e32 v22, 8, v12
	v_or_b32_e32 v1, v17, v1
	s_wait_alu 0xf1ff
	v_cndmask_b32_e64 v17, 0, 1, s0
	v_cmp_gt_i32_e64 s0, 1, v18
	v_bfe_u32 v23, v12, 20, 11
	v_cmp_eq_u32_e64 s2, 0x40f, v24
	v_lshl_or_b32 v5, v5, 16, v3
	v_lshl_or_b32 v17, v17, 9, 0x7c00
	s_wait_alu 0xf1ff
	v_cndmask_b32_e64 v1, v16, v1, s0
	v_mul_f16_e32 v16, v82, v19
	v_cmp_gt_i32_e64 s0, 31, v24
	v_lshrrev_b32_e32 v12, 16, v12
	s_delay_alu instid0(VALU_DEP_3) | instskip(SKIP_1) | instid1(VALU_DEP_3)
	v_fmac_f16_e32 v16, v80, v2
	s_wait_alu 0xf1ff
	v_cndmask_b32_e64 v20, 0x7c00, v15, s0
	v_and_b32_e32 v15, 7, v1
	v_cmp_ne_u32_e64 s0, 0, v11
	v_lshrrev_b32_e32 v1, 2, v1
	v_cvt_f32_f16_e32 v16, v16
	v_cndmask_b32_e64 v17, v20, v17, s2
	v_cmp_eq_u32_e64 s1, 3, v15
	s_wait_alu 0xf1ff
	v_cndmask_b32_e64 v11, 0, 1, s0
	v_cmp_lt_i32_e64 s0, 5, v15
	v_cvt_f64_f32_e32 v[15:16], v16
	v_mul_f16_e32 v2, v82, v2
	v_and_or_b32 v17, 0x8000, v21, v17
	v_and_or_b32 v11, 0xffe, v22, v11
	s_or_b32 s0, s1, s0
	v_sub_nc_u32_e32 v22, 0x3f1, v23
	s_wait_alu 0xfffe
	v_add_co_ci_u32_e64 v1, s0, 0, v1, s0
	v_cmp_ne_u32_e64 s0, 0, v9
	v_or_b32_e32 v20, 0x1000, v11
	v_med3_i32 v22, v22, 0, 13
	v_and_b32_e32 v17, 0xffff, v17
	s_wait_alu 0xf1ff
	v_cndmask_b32_e64 v9, 0, 1, s0
	v_cmp_gt_i32_e64 s0, 31, v18
	v_lshrrev_b32_e32 v24, v22, v20
	s_delay_alu instid0(VALU_DEP_3) | instskip(SKIP_1) | instid1(VALU_DEP_3)
	v_lshl_or_b32 v9, v9, 9, 0x7c00
	s_wait_alu 0xf1ff
	v_cndmask_b32_e64 v1, 0x7c00, v1, s0
	v_cmp_eq_u32_e64 s0, 0x40f, v18
	v_lshlrev_b32_e32 v21, v22, v24
	s_wait_alu 0xf1ff
	s_delay_alu instid0(VALU_DEP_2)
	v_cndmask_b32_e64 v18, v1, v9, s0
	v_fma_f16 v1, v80, v19, -v2
	v_and_or_b32 v2, 0x1ff, v14, v13
	v_cmp_ne_u32_e64 s0, v21, v20
	v_add_nc_u32_e32 v13, 0xfffffc10, v23
	v_lshrrev_b32_e32 v20, 8, v14
	v_cvt_f32_f16_e32 v1, v1
	v_bfe_u32 v21, v14, 20, 11
	s_wait_alu 0xf1ff
	v_cndmask_b32_e64 v9, 0, 1, s0
	v_cmp_ne_u32_e64 s0, 0, v2
	v_lshl_or_b32 v22, v13, 12, v11
	v_cvt_f64_f32_e32 v[1:2], v1
	v_lshrrev_b32_e32 v23, 16, v10
	v_or_b32_e32 v9, v24, v9
	s_wait_alu 0xf1ff
	v_cndmask_b32_e64 v19, 0, 1, s0
	v_cmp_gt_i32_e64 s0, 1, v13
	v_lshrrev_b32_e32 v24, 16, v4
	v_and_or_b32 v3, 0x8000, v23, v18
	v_lshrrev_b32_e32 v14, 16, v14
	v_and_or_b32 v19, 0xffe, v20, v19
	v_sub_nc_u32_e32 v20, 0x3f1, v21
	s_wait_alu 0xf1ff
	v_cndmask_b32_e64 v22, v22, v9, s0
	v_mul_f64_e32 v[9:10], s[10:11], v[15:16]
	v_add_co_u32 v7, s0, v7, s6
	v_or_b32_e32 v15, 0x1000, v19
	v_med3_i32 v16, v20, 0, 13
	v_and_b32_e32 v18, 7, v22
	v_lshl_or_b32 v23, v3, 16, v17
	s_wait_alu 0xf1ff
	v_add_co_ci_u32_e64 v8, s0, s7, v8, s0
	v_lshrrev_b32_e32 v20, v16, v15
	v_cmp_lt_i32_e64 s0, 5, v18
	v_cmp_eq_u32_e64 s1, 3, v18
	v_add_nc_u32_e32 v21, 0xfffffc10, v21
	s_delay_alu instid0(VALU_DEP_4) | instskip(SKIP_1) | instid1(VALU_DEP_4)
	v_lshlrev_b32_e32 v3, v16, v20
	v_lshrrev_b32_e32 v16, 2, v22
	s_or_b32 s0, s1, s0
	s_delay_alu instid0(VALU_DEP_3) | instskip(NEXT) | instid1(VALU_DEP_3)
	v_lshl_or_b32 v17, v21, 12, v19
	v_cmp_ne_u32_e64 s2, v3, v15
	s_wait_alu 0xfffe
	v_add_co_ci_u32_e64 v16, s0, 0, v16, s0
	v_mul_f16_e32 v15, v79, v24
	v_cmp_ne_u32_e64 s0, 0, v11
	s_wait_alu 0xf1ff
	v_cndmask_b32_e64 v3, 0, 1, s2
	s_delay_alu instid0(VALU_DEP_3) | instskip(NEXT) | instid1(VALU_DEP_3)
	v_fmac_f16_e32 v15, v78, v4
	v_cndmask_b32_e64 v11, 0, 1, s0
	s_delay_alu instid0(VALU_DEP_3)
	v_or_b32_e32 v3, v20, v3
	v_mul_f64_e32 v[1:2], s[10:11], v[1:2]
	v_cmp_gt_i32_e64 s0, 1, v21
	v_cvt_f32_f16_e32 v15, v15
	v_lshl_or_b32 v11, v11, 9, 0x7c00
	s_wait_alu 0xf1ff
	s_delay_alu instid0(VALU_DEP_3) | instskip(SKIP_2) | instid1(VALU_DEP_3)
	v_cndmask_b32_e64 v3, v17, v3, s0
	v_cmp_gt_i32_e64 s0, 31, v13
	v_and_or_b32 v9, 0x1ff, v10, v9
	v_and_b32_e32 v22, 7, v3
	s_wait_alu 0xf1ff
	s_delay_alu instid0(VALU_DEP_3)
	v_cndmask_b32_e64 v20, 0x7c00, v16, s0
	v_cvt_f64_f32_e32 v[15:16], v15
	v_add_co_u32 v17, s0, v7, s6
	s_wait_alu 0xf1ff
	v_add_co_ci_u32_e64 v18, s0, s7, v8, s0
	v_cmp_eq_u32_e64 s0, 0x40f, v13
	v_cmp_ne_u32_e64 s1, 0, v9
	v_lshrrev_b32_e32 v3, 2, v3
	v_lshrrev_b32_e32 v13, 8, v10
	global_store_b32 v[7:8], v5, off
	global_store_b32 v[17:18], v23, off
	s_wait_alu 0xf1ff
	v_cndmask_b32_e64 v11, v20, v11, s0
	v_cmp_lt_i32_e64 s0, 5, v22
	v_cndmask_b32_e64 v9, 0, 1, s1
	v_cmp_eq_u32_e64 s1, 3, v22
	v_bfe_u32 v20, v10, 20, 11
	v_and_or_b32 v25, 0x8000, v12, v11
	v_lshrrev_b32_e32 v10, 16, v10
	v_and_or_b32 v9, 0xffe, v13, v9
	s_or_b32 s0, s1, s0
	v_sub_nc_u32_e32 v13, 0x3f1, v20
	s_wait_alu 0xfffe
	v_add_co_ci_u32_e64 v3, s0, 0, v3, s0
	v_cmp_ne_u32_e64 s0, 0, v19
	v_or_b32_e32 v22, 0x1000, v9
	v_med3_i32 v13, v13, 0, 13
	v_and_or_b32 v1, 0x1ff, v2, v1
	v_bfe_u32 v26, v2, 20, 11
	s_wait_alu 0xf1ff
	v_cndmask_b32_e64 v19, 0, 1, s0
	v_cmp_gt_i32_e64 s0, 31, v21
	v_lshrrev_b32_e32 v11, v13, v22
	s_delay_alu instid0(VALU_DEP_3) | instskip(SKIP_1) | instid1(VALU_DEP_3)
	v_lshl_or_b32 v19, v19, 9, 0x7c00
	s_wait_alu 0xf1ff
	v_cndmask_b32_e64 v3, 0x7c00, v3, s0
	v_cmp_eq_u32_e64 s0, 0x40f, v21
	v_lshlrev_b32_e32 v12, v13, v11
	v_mul_f16_e32 v13, v79, v4
	v_lshrrev_b32_e32 v21, 8, v2
	v_lshrrev_b32_e32 v2, 16, v2
	s_wait_alu 0xf1ff
	v_cndmask_b32_e64 v19, v3, v19, s0
	v_cmp_ne_u32_e64 s0, 0, v1
	v_mul_f64_e32 v[3:4], s[10:11], v[15:16]
	v_fma_f16 v13, v78, v24, -v13
	v_add_nc_u32_e32 v15, 0xfffffc10, v20
	v_sub_nc_u32_e32 v16, 0x3f1, v26
	s_wait_alu 0xf1ff
	v_cndmask_b32_e64 v1, 0, 1, s0
	v_cmp_ne_u32_e64 s0, v12, v22
	v_cvt_f32_f16_e32 v13, v13
	v_and_or_b32 v14, 0x8000, v14, v19
	v_cmp_eq_u32_e64 s2, 0x40f, v15
	v_and_or_b32 v1, 0xffe, v21, v1
	s_wait_alu 0xf1ff
	v_cndmask_b32_e64 v12, 0, 1, s0
	v_lshl_or_b32 v21, v15, 12, v9
	v_cmp_gt_i32_e64 s0, 1, v15
	v_or_b32_e32 v22, 0x1000, v1
	s_delay_alu instid0(VALU_DEP_4)
	v_or_b32_e32 v20, v11, v12
	v_cvt_f64_f32_e32 v[11:12], v13
	v_med3_i32 v13, v16, 0, 13
	v_and_b32_e32 v16, 0xffff, v25
	s_wait_alu 0xf1ff
	v_cndmask_b32_e64 v19, v21, v20, s0
	v_add_co_u32 v7, s0, v17, s6
	v_lshrrev_b32_e32 v20, v13, v22
	s_wait_alu 0xf1ff
	v_add_co_ci_u32_e64 v8, s0, s7, v18, s0
	v_and_b32_e32 v5, 7, v19
	v_lshrrev_b32_e32 v17, 16, v0
	v_lshlrev_b32_e32 v13, v13, v20
	v_add_nc_u32_e32 v18, 0xfffffc10, v26
	v_lshl_or_b32 v16, v14, 16, v16
	v_cmp_lt_i32_e64 s0, 5, v5
	v_mul_f16_e32 v14, v77, v17
	v_cmp_ne_u32_e64 s1, v13, v22
	s_delay_alu instid0(VALU_DEP_2) | instskip(SKIP_1) | instid1(VALU_DEP_2)
	v_fmac_f16_e32 v14, v75, v0
	s_wait_alu 0xf1ff
	v_cndmask_b32_e64 v13, 0, 1, s1
	v_cmp_eq_u32_e64 s1, 3, v5
	v_lshrrev_b32_e32 v5, 2, v19
	v_lshl_or_b32 v19, v18, 12, v1
	v_and_or_b32 v3, 0x1ff, v4, v3
	v_or_b32_e32 v13, v20, v13
	s_or_b32 s0, s1, s0
	v_cvt_f32_f16_e32 v14, v14
	s_wait_alu 0xfffe
	v_add_co_ci_u32_e64 v5, s0, 0, v5, s0
	v_cmp_gt_i32_e64 s0, 1, v18
	v_lshrrev_b32_e32 v20, 8, v4
	v_bfe_u32 v21, v4, 20, 11
	v_lshrrev_b32_e32 v4, 16, v4
	s_wait_alu 0xf1ff
	v_cndmask_b32_e64 v19, v19, v13, s0
	v_cmp_ne_u32_e64 s0, 0, v3
	v_cvt_f64_f32_e32 v[13:14], v14
	v_mul_f64_e32 v[11:12], s[10:11], v[11:12]
	s_delay_alu instid0(VALU_DEP_4)
	v_and_b32_e32 v22, 7, v19
	s_wait_alu 0xf1ff
	v_cndmask_b32_e64 v3, 0, 1, s0
	v_cmp_ne_u32_e64 s0, 0, v9
	v_lshrrev_b32_e32 v19, 2, v19
	v_cmp_eq_u32_e64 s1, 3, v22
	s_delay_alu instid0(VALU_DEP_4)
	v_and_or_b32 v20, 0xffe, v20, v3
	s_wait_alu 0xf1ff
	v_cndmask_b32_e64 v9, 0, 1, s0
	v_cmp_gt_i32_e64 s0, 31, v15
	v_sub_nc_u32_e32 v3, 0x3f1, v21
	v_or_b32_e32 v23, 0x1000, v20
	s_delay_alu instid0(VALU_DEP_4) | instskip(SKIP_4) | instid1(VALU_DEP_3)
	v_lshl_or_b32 v9, v9, 9, 0x7c00
	s_wait_alu 0xf1ff
	v_cndmask_b32_e64 v5, 0x7c00, v5, s0
	v_cmp_lt_i32_e64 s0, 5, v22
	v_med3_i32 v3, v3, 0, 13
	v_cndmask_b32_e64 v5, v5, v9, s2
	s_delay_alu instid0(VALU_DEP_3) | instskip(NEXT) | instid1(VALU_DEP_2)
	s_or_b32 s0, s1, s0
	v_lshrrev_b32_e32 v9, v3, v23
	s_wait_alu 0xfffe
	v_add_co_ci_u32_e64 v15, s0, 0, v19, s0
	v_cmp_ne_u32_e64 s0, 0, v1
	v_add_nc_u32_e32 v19, 0xfffffc10, v21
	v_lshlrev_b32_e32 v3, v3, v9
	v_and_or_b32 v5, 0x8000, v10, v5
	s_wait_alu 0xf1ff
	v_cndmask_b32_e64 v1, 0, 1, s0
	v_cmp_gt_i32_e64 s0, 31, v18
	s_delay_alu instid0(VALU_DEP_3) | instskip(NEXT) | instid1(VALU_DEP_3)
	v_and_b32_e32 v5, 0xffff, v5
	v_lshl_or_b32 v1, v1, 9, 0x7c00
	s_wait_alu 0xf1ff
	s_delay_alu instid0(VALU_DEP_3) | instskip(SKIP_3) | instid1(VALU_DEP_2)
	v_cndmask_b32_e64 v15, 0x7c00, v15, s0
	v_cmp_ne_u32_e64 s0, v3, v23
	v_and_or_b32 v11, 0x1ff, v12, v11
	s_wait_alu 0xf1ff
	v_cndmask_b32_e64 v3, 0, 1, s0
	v_cmp_eq_u32_e64 s0, 0x40f, v18
	s_delay_alu instid0(VALU_DEP_2) | instskip(SKIP_2) | instid1(VALU_DEP_3)
	v_or_b32_e32 v3, v9, v3
	v_mul_f16_e32 v9, v77, v0
	s_wait_alu 0xf1ff
	v_cndmask_b32_e64 v10, v15, v1, s0
	v_mul_f64_e32 v[0:1], s[10:11], v[13:14]
	v_lshl_or_b32 v13, v19, 12, v20
	v_cmp_gt_i32_e64 s0, 1, v19
	v_fma_f16 v9, v75, v17, -v9
	v_bfe_u32 v14, v12, 20, 11
	v_and_or_b32 v10, 0x8000, v2, v10
	v_lshrrev_b32_e32 v17, 16, v6
	s_wait_alu 0xf1ff
	v_cndmask_b32_e64 v13, v13, v3, s0
	v_cmp_ne_u32_e64 s0, 0, v11
	v_cvt_f32_f16_e32 v3, v9
	v_lshrrev_b32_e32 v9, 8, v12
	v_mul_f16_e32 v21, v76, v17
	v_and_b32_e32 v15, 7, v13
	s_wait_alu 0xf1ff
	v_cndmask_b32_e64 v11, 0, 1, s0
	v_cvt_f64_f32_e32 v[2:3], v3
	v_lshrrev_b32_e32 v12, 16, v12
	v_fmac_f16_e32 v21, v74, v6
	v_cmp_lt_i32_e64 s0, 5, v15
	v_and_or_b32 v11, 0xffe, v9, v11
	v_sub_nc_u32_e32 v9, 0x3f1, v14
	v_cmp_eq_u32_e64 s1, 3, v15
	v_lshl_or_b32 v15, v10, 16, v5
	v_lshrrev_b32_e32 v5, 2, v13
	v_or_b32_e32 v18, 0x1000, v11
	v_med3_i32 v9, v9, 0, 13
	s_or_b32 s0, s1, s0
	v_mul_f16_e32 v6, v76, v6
	s_wait_alu 0xfffe
	v_add_co_ci_u32_e64 v5, s0, 0, v5, s0
	v_lshrrev_b32_e32 v13, v9, v18
	v_cmp_ne_u32_e64 s0, 0, v20
	v_fma_f16 v6, v74, v17, -v6
	s_delay_alu instid0(VALU_DEP_3) | instskip(SKIP_1) | instid1(VALU_DEP_3)
	v_lshlrev_b32_e32 v20, v9, v13
	s_wait_alu 0xf1ff
	v_cndmask_b32_e64 v10, 0, 1, s0
	v_cvt_f32_f16_e32 v9, v21
	v_cmp_gt_i32_e64 s0, 31, v19
	v_and_or_b32 v0, 0x1ff, v1, v0
	v_cvt_f32_f16_e32 v6, v6
	v_lshl_or_b32 v22, v10, 9, 0x7c00
	v_cvt_f64_f32_e32 v[9:10], v9
	s_wait_alu 0xf1ff
	v_cndmask_b32_e64 v21, 0x7c00, v5, s0
	v_cmp_ne_u32_e64 s0, v20, v18
	v_add_nc_u32_e32 v18, 0xfffffc10, v14
	v_lshrrev_b32_e32 v14, 8, v1
	v_bfe_u32 v20, v1, 20, 11
	v_lshrrev_b32_e32 v1, 16, v1
	s_wait_alu 0xf1ff
	v_cndmask_b32_e64 v5, 0, 1, s0
	v_cmp_ne_u32_e64 s0, 0, v0
	v_mul_f64_e32 v[2:3], s[10:11], v[2:3]
	s_delay_alu instid0(VALU_DEP_3) | instskip(SKIP_1) | instid1(VALU_DEP_3)
	v_or_b32_e32 v5, v13, v5
	s_wait_alu 0xf1ff
	v_cndmask_b32_e64 v0, 0, 1, s0
	v_lshl_or_b32 v13, v18, 12, v11
	v_cmp_gt_i32_e64 s0, 1, v18
	s_delay_alu instid0(VALU_DEP_3) | instskip(SKIP_2) | instid1(VALU_DEP_3)
	v_and_or_b32 v0, 0xffe, v14, v0
	v_sub_nc_u32_e32 v14, 0x3f1, v20
	s_wait_alu 0xf1ff
	v_cndmask_b32_e64 v17, v13, v5, s0
	v_cmp_eq_u32_e64 s0, 0x40f, v19
	v_cvt_f64_f32_e32 v[5:6], v6
	v_or_b32_e32 v23, 0x1000, v0
	v_med3_i32 v24, v14, 0, 13
	v_add_nc_u32_e32 v20, 0xfffffc10, v20
	s_wait_alu 0xf1ff
	v_cndmask_b32_e64 v19, v21, v22, s0
	v_and_b32_e32 v21, 7, v17
	v_add_co_u32 v13, s0, v7, s4
	v_lshrrev_b32_e32 v22, v24, v23
	s_wait_alu 0xf1ff
	v_add_co_ci_u32_e64 v14, s0, s5, v8, s0
	v_cmp_lt_i32_e64 s0, 5, v21
	v_cmp_eq_u32_e64 s1, 3, v21
	v_and_or_b32 v19, 0x8000, v4, v19
	v_lshrrev_b32_e32 v4, 2, v17
	v_lshlrev_b32_e32 v24, v24, v22
	v_mul_f64_e32 v[9:10], s[10:11], v[9:10]
	s_or_b32 s0, s1, s0
	v_lshl_or_b32 v21, v20, 12, v0
	s_wait_alu 0xfffe
	v_add_co_ci_u32_e64 v4, s0, 0, v4, s0
	v_cmp_ne_u32_e64 s2, v24, v23
	v_cmp_ne_u32_e64 s0, 0, v11
	s_wait_alu 0xf1ff
	s_delay_alu instid0(VALU_DEP_2) | instskip(NEXT) | instid1(VALU_DEP_2)
	v_cndmask_b32_e64 v17, 0, 1, s2
	v_cndmask_b32_e64 v11, 0, 1, s0
	v_cmp_gt_i32_e64 s0, 31, v18
	v_and_or_b32 v2, 0x1ff, v3, v2
	s_delay_alu instid0(VALU_DEP_4) | instskip(NEXT) | instid1(VALU_DEP_4)
	v_or_b32_e32 v17, v22, v17
	v_lshl_or_b32 v11, v11, 9, 0x7c00
	s_wait_alu 0xf1ff
	v_cndmask_b32_e64 v4, 0x7c00, v4, s0
	v_cmp_gt_i32_e64 s0, 1, v20
	s_wait_alu 0xf1ff
	s_delay_alu instid0(VALU_DEP_1) | instskip(SKIP_2) | instid1(VALU_DEP_3)
	v_cndmask_b32_e64 v17, v21, v17, s0
	v_cmp_eq_u32_e64 s0, 0x40f, v18
	v_lshrrev_b32_e32 v21, 8, v3
	v_and_b32_e32 v18, 7, v17
	s_wait_alu 0xf1ff
	s_delay_alu instid0(VALU_DEP_3)
	v_cndmask_b32_e64 v11, v4, v11, s0
	v_cmp_ne_u32_e64 s0, 0, v2
	v_mul_f64_e32 v[4:5], s[10:11], v[5:6]
	v_bfe_u32 v6, v3, 20, 11
	v_cmp_eq_u32_e64 s1, 3, v18
	v_and_or_b32 v11, 0x8000, v12, v11
	v_and_b32_e32 v12, 0xffff, v19
	s_wait_alu 0xf1ff
	v_cndmask_b32_e64 v2, 0, 1, s0
	v_cmp_lt_i32_e64 s0, 5, v18
	v_sub_nc_u32_e32 v19, 0x3f1, v6
	v_and_or_b32 v9, 0x1ff, v10, v9
	v_lshl_or_b32 v11, v11, 16, v12
	v_lshrrev_b32_e32 v12, 2, v17
	v_and_or_b32 v2, 0xffe, v21, v2
	s_or_b32 s0, s1, s0
	v_med3_i32 v18, v19, 0, 13
	v_lshrrev_b32_e32 v21, 8, v10
	s_wait_alu 0xfffe
	v_add_co_ci_u32_e64 v12, s0, 0, v12, s0
	v_or_b32_e32 v17, 0x1000, v2
	v_cmp_ne_u32_e64 s0, 0, v0
	v_bfe_u32 v22, v10, 20, 11
	v_add_nc_u32_e32 v6, 0xfffffc10, v6
	v_lshrrev_b32_e32 v3, 16, v3
	v_lshrrev_b32_e32 v19, v18, v17
	s_wait_alu 0xf1ff
	v_cndmask_b32_e64 v0, 0, 1, s0
	v_cmp_gt_i32_e64 s0, 31, v20
	s_delay_alu instid0(VALU_DEP_3) | instskip(NEXT) | instid1(VALU_DEP_3)
	v_lshlrev_b32_e32 v18, v18, v19
	v_lshl_or_b32 v0, v0, 9, 0x7c00
	s_wait_alu 0xf1ff
	s_delay_alu instid0(VALU_DEP_3) | instskip(SKIP_2) | instid1(VALU_DEP_1)
	v_cndmask_b32_e64 v12, 0x7c00, v12, s0
	v_cmp_ne_u32_e64 s0, 0, v9
	s_wait_alu 0xf1ff
	v_cndmask_b32_e64 v9, 0, 1, s0
	v_cmp_ne_u32_e64 s0, v18, v17
	v_sub_nc_u32_e32 v18, 0x3f1, v22
	v_and_or_b32 v4, 0x1ff, v5, v4
	s_delay_alu instid0(VALU_DEP_4)
	v_and_or_b32 v9, 0xffe, v21, v9
	s_wait_alu 0xf1ff
	v_cndmask_b32_e64 v17, 0, 1, s0
	v_cmp_eq_u32_e64 s0, 0x40f, v20
	v_med3_i32 v18, v18, 0, 13
	v_lshrrev_b32_e32 v20, 8, v5
	v_bfe_u32 v21, v5, 20, 11
	s_wait_alu 0xf1ff
	v_cndmask_b32_e64 v0, v12, v0, s0
	v_or_b32_e32 v12, v19, v17
	v_lshl_or_b32 v17, v6, 12, v2
	v_or_b32_e32 v19, 0x1000, v9
	v_cmp_gt_i32_e64 s0, 1, v6
	v_and_or_b32 v0, 0x8000, v1, v0
	s_wait_alu 0xf1ff
	s_delay_alu instid0(VALU_DEP_2) | instskip(SKIP_3) | instid1(VALU_DEP_4)
	v_cndmask_b32_e64 v12, v17, v12, s0
	v_lshrrev_b32_e32 v17, v18, v19
	v_cmp_ne_u32_e64 s0, 0, v4
	v_and_b32_e32 v0, 0xffff, v0
	v_and_b32_e32 v23, 7, v12
	s_delay_alu instid0(VALU_DEP_4)
	v_lshlrev_b32_e32 v18, v18, v17
	s_wait_alu 0xf1ff
	v_cndmask_b32_e64 v4, 0, 1, s0
	v_lshrrev_b32_e32 v12, 2, v12
	v_cmp_lt_i32_e64 s0, 5, v23
	v_cmp_ne_u32_e64 s1, v18, v19
	s_delay_alu instid0(VALU_DEP_4)
	v_and_or_b32 v1, 0xffe, v20, v4
	v_sub_nc_u32_e32 v4, 0x3f1, v21
	v_add_nc_u32_e32 v20, 0xfffffc10, v22
	s_wait_alu 0xf1ff
	v_cndmask_b32_e64 v18, 0, 1, s1
	v_cmp_eq_u32_e64 s1, 3, v23
	v_or_b32_e32 v19, 0x1000, v1
	v_med3_i32 v4, v4, 0, 13
	v_lshl_or_b32 v22, v20, 12, v9
	v_or_b32_e32 v17, v17, v18
	s_or_b32 s0, s1, s0
	s_wait_alu 0xfffe
	v_add_co_ci_u32_e64 v12, s0, 0, v12, s0
	v_lshrrev_b32_e32 v18, v4, v19
	v_cmp_gt_i32_e64 s0, 1, v20
	s_delay_alu instid0(VALU_DEP_2) | instskip(SKIP_1) | instid1(VALU_DEP_2)
	v_lshlrev_b32_e32 v4, v4, v18
	s_wait_alu 0xf1ff
	v_cndmask_b32_e64 v17, v22, v17, s0
	v_cmp_ne_u32_e64 s0, 0, v2
	s_wait_alu 0xf1ff
	s_delay_alu instid0(VALU_DEP_1) | instskip(SKIP_3) | instid1(VALU_DEP_4)
	v_cndmask_b32_e64 v2, 0, 1, s0
	v_cmp_ne_u32_e64 s0, v4, v19
	v_add_nc_u32_e32 v19, 0xfffffc10, v21
	v_and_b32_e32 v21, 7, v17
	v_lshl_or_b32 v2, v2, 9, 0x7c00
	s_wait_alu 0xf1ff
	v_cndmask_b32_e64 v4, 0, 1, s0
	v_cmp_gt_i32_e64 s0, 31, v6
	v_cmp_gt_i32_e64 s2, 1, v19
	v_cmp_eq_u32_e64 s1, 3, v21
	s_delay_alu instid0(VALU_DEP_4) | instskip(SKIP_4) | instid1(VALU_DEP_3)
	v_or_b32_e32 v4, v18, v4
	v_lshl_or_b32 v18, v19, 12, v1
	s_wait_alu 0xf1ff
	v_cndmask_b32_e64 v12, 0x7c00, v12, s0
	v_cmp_lt_i32_e64 s0, 5, v21
	v_cndmask_b32_e64 v4, v18, v4, s2
	v_cmp_eq_u32_e64 s2, 0x40f, v6
	v_lshrrev_b32_e32 v6, 2, v17
	s_delay_alu instid0(VALU_DEP_4) | instskip(NEXT) | instid1(VALU_DEP_2)
	s_or_b32 s0, s1, s0
	v_cndmask_b32_e64 v2, v12, v2, s2
	s_wait_alu 0xfffe
	s_delay_alu instid0(VALU_DEP_2) | instskip(SKIP_4) | instid1(VALU_DEP_4)
	v_add_co_ci_u32_e64 v6, s0, 0, v6, s0
	v_and_b32_e32 v12, 7, v4
	v_cmp_ne_u32_e64 s0, 0, v9
	v_lshrrev_b32_e32 v4, 2, v4
	v_cmp_gt_i32_e64 s2, 31, v20
	v_cmp_eq_u32_e64 s1, 3, v12
	s_wait_alu 0xf1ff
	v_cndmask_b32_e64 v9, 0, 1, s0
	v_cmp_lt_i32_e64 s0, 5, v12
	v_cndmask_b32_e64 v6, 0x7c00, v6, s2
	s_delay_alu instid0(VALU_DEP_3) | instskip(NEXT) | instid1(VALU_DEP_3)
	v_lshl_or_b32 v9, v9, 9, 0x7c00
	s_or_b32 s0, s1, s0
	s_wait_alu 0xfffe
	v_add_co_ci_u32_e64 v4, s0, 0, v4, s0
	v_cmp_ne_u32_e64 s0, 0, v1
	s_wait_alu 0xf1ff
	s_delay_alu instid0(VALU_DEP_1) | instskip(SKIP_1) | instid1(VALU_DEP_2)
	v_cndmask_b32_e64 v1, 0, 1, s0
	v_cmp_eq_u32_e64 s0, 0x40f, v20
	v_lshl_or_b32 v1, v1, 9, 0x7c00
	s_wait_alu 0xf1ff
	s_delay_alu instid0(VALU_DEP_2) | instskip(SKIP_4) | instid1(VALU_DEP_3)
	v_cndmask_b32_e64 v6, v6, v9, s0
	v_cmp_gt_i32_e64 s0, 31, v19
	v_lshrrev_b32_e32 v9, 16, v10
	v_and_or_b32 v10, 0x8000, v3, v2
	s_wait_alu 0xf1ff
	v_cndmask_b32_e64 v4, 0x7c00, v4, s0
	v_cmp_eq_u32_e64 s0, 0x40f, v19
	v_and_or_b32 v6, 0x8000, v9, v6
	v_lshl_or_b32 v9, v10, 16, v0
	s_wait_alu 0xf1ff
	s_delay_alu instid0(VALU_DEP_3) | instskip(SKIP_4) | instid1(VALU_DEP_3)
	v_cndmask_b32_e64 v1, v4, v1, s0
	v_lshrrev_b32_e32 v4, 16, v5
	v_add_co_u32 v2, s0, v13, s6
	s_wait_alu 0xf1ff
	v_add_co_ci_u32_e64 v3, s0, s7, v14, s0
	v_and_or_b32 v0, 0x8000, v4, v1
	v_and_b32_e32 v1, 0xffff, v6
	v_add_co_u32 v4, s0, v2, s6
	s_wait_alu 0xf1ff
	v_add_co_ci_u32_e64 v5, s0, s7, v3, s0
	s_delay_alu instid0(VALU_DEP_3) | instskip(NEXT) | instid1(VALU_DEP_3)
	v_lshl_or_b32 v6, v0, 16, v1
	v_add_co_u32 v0, s0, v4, s6
	s_wait_alu 0xf1ff
	s_delay_alu instid0(VALU_DEP_3)
	v_add_co_ci_u32_e64 v1, s0, s7, v5, s0
	global_store_b32 v[7:8], v16, off
	global_store_b32 v[13:14], v15, off
	;; [unrolled: 1-line block ×5, first 2 shown]
	s_and_b32 exec_lo, exec_lo, vcc_lo
	s_cbranch_execz .LBB0_33
; %bb.32:
	global_load_b32 v4, v[31:32], off offset:10240
	ds_load_2addr_stride64_b32 v[2:3], v73 offset0:40 offset1:82
	s_wait_dscnt 0x0
	v_lshrrev_b32_e32 v5, 16, v2
	s_wait_loadcnt 0x0
	v_lshrrev_b32_e32 v6, 16, v4
	s_delay_alu instid0(VALU_DEP_1) | instskip(SKIP_1) | instid1(VALU_DEP_2)
	v_mul_f16_e32 v7, v5, v6
	v_mul_f16_e32 v6, v2, v6
	v_fmac_f16_e32 v7, v2, v4
	s_delay_alu instid0(VALU_DEP_2) | instskip(NEXT) | instid1(VALU_DEP_2)
	v_fma_f16 v2, v4, v5, -v6
	v_cvt_f32_f16_e32 v4, v7
	s_delay_alu instid0(VALU_DEP_2) | instskip(NEXT) | instid1(VALU_DEP_2)
	v_cvt_f32_f16_e32 v2, v2
	v_cvt_f64_f32_e32 v[4:5], v4
	s_delay_alu instid0(VALU_DEP_2) | instskip(NEXT) | instid1(VALU_DEP_2)
	v_cvt_f64_f32_e32 v[6:7], v2
	v_mul_f64_e32 v[4:5], s[10:11], v[4:5]
	s_delay_alu instid0(VALU_DEP_2) | instskip(NEXT) | instid1(VALU_DEP_2)
	v_mul_f64_e32 v[6:7], s[10:11], v[6:7]
	v_and_or_b32 v2, 0x1ff, v5, v4
	s_delay_alu instid0(VALU_DEP_2)
	v_and_or_b32 v6, 0x1ff, v7, v6
	v_lshrrev_b32_e32 v4, 8, v5
	v_bfe_u32 v8, v5, 20, 11
	v_lshrrev_b32_e32 v9, 8, v7
	v_cmp_ne_u32_e32 vcc_lo, 0, v2
	v_bfe_u32 v10, v7, 20, 11
	v_lshrrev_b32_e32 v5, 16, v5
	v_sub_nc_u32_e32 v11, 0x3f1, v8
	v_add_nc_u32_e32 v8, 0xfffffc10, v8
	s_wait_alu 0xfffd
	v_cndmask_b32_e64 v2, 0, 1, vcc_lo
	v_cmp_ne_u32_e32 vcc_lo, 0, v6
	v_lshrrev_b32_e32 v7, 16, v7
	s_delay_alu instid0(VALU_DEP_3) | instskip(SKIP_4) | instid1(VALU_DEP_3)
	v_and_or_b32 v2, 0xffe, v4, v2
	s_wait_alu 0xfffd
	v_cndmask_b32_e64 v6, 0, 1, vcc_lo
	v_sub_nc_u32_e32 v4, 0x3f1, v10
	v_add_nc_u32_e32 v10, 0xfffffc10, v10
	v_and_or_b32 v6, 0xffe, v9, v6
	v_med3_i32 v9, v11, 0, 13
	v_or_b32_e32 v11, 0x1000, v2
	v_med3_i32 v4, v4, 0, 13
	s_delay_alu instid0(VALU_DEP_4) | instskip(NEXT) | instid1(VALU_DEP_3)
	v_or_b32_e32 v12, 0x1000, v6
	v_lshrrev_b32_e32 v13, v9, v11
	s_delay_alu instid0(VALU_DEP_2) | instskip(NEXT) | instid1(VALU_DEP_2)
	v_lshrrev_b32_e32 v14, v4, v12
	v_lshlrev_b32_e32 v9, v9, v13
	s_delay_alu instid0(VALU_DEP_1) | instskip(SKIP_3) | instid1(VALU_DEP_1)
	v_cmp_ne_u32_e32 vcc_lo, v9, v11
	v_lshl_or_b32 v11, v8, 12, v2
	s_wait_alu 0xfffd
	v_cndmask_b32_e64 v9, 0, 1, vcc_lo
	v_or_b32_e32 v9, v13, v9
	v_lshlrev_b32_e32 v4, v4, v14
	s_delay_alu instid0(VALU_DEP_1) | instskip(SKIP_4) | instid1(VALU_DEP_2)
	v_cmp_ne_u32_e32 vcc_lo, v4, v12
	v_lshl_or_b32 v12, v10, 12, v6
	s_wait_alu 0xfffd
	v_cndmask_b32_e64 v4, 0, 1, vcc_lo
	v_cmp_gt_i32_e32 vcc_lo, 1, v8
	v_or_b32_e32 v4, v14, v4
	s_wait_alu 0xfffd
	v_cndmask_b32_e32 v9, v11, v9, vcc_lo
	v_cmp_gt_i32_e32 vcc_lo, 1, v10
	s_wait_alu 0xfffd
	s_delay_alu instid0(VALU_DEP_2) | instskip(SKIP_2) | instid1(VALU_DEP_3)
	v_dual_cndmask_b32 v4, v12, v4 :: v_dual_and_b32 v11, 7, v9
	v_cmp_ne_u32_e32 vcc_lo, 0, v2
	v_lshrrev_b32_e32 v9, 2, v9
	v_cmp_eq_u32_e64 s0, 3, v11
	s_wait_alu 0xfffd
	v_cndmask_b32_e64 v2, 0, 1, vcc_lo
	v_cmp_ne_u32_e32 vcc_lo, 0, v6
	s_delay_alu instid0(VALU_DEP_2) | instskip(SKIP_3) | instid1(VALU_DEP_2)
	v_lshl_or_b32 v2, v2, 9, 0x7c00
	s_wait_alu 0xfffd
	v_cndmask_b32_e64 v6, 0, 1, vcc_lo
	v_cmp_lt_i32_e32 vcc_lo, 5, v11
	v_lshl_or_b32 v6, v6, 9, 0x7c00
	s_or_b32 vcc_lo, s0, vcc_lo
	s_wait_alu 0xfffe
	v_add_co_ci_u32_e32 v9, vcc_lo, 0, v9, vcc_lo
	v_and_b32_e32 v12, 7, v4
	v_lshrrev_b32_e32 v4, 2, v4
	s_delay_alu instid0(VALU_DEP_2) | instskip(SKIP_1) | instid1(VALU_DEP_1)
	v_cmp_lt_i32_e64 s1, 5, v12
	v_cmp_eq_u32_e64 s2, 3, v12
	s_or_b32 vcc_lo, s2, s1
	s_wait_alu 0xfffe
	v_add_co_ci_u32_e32 v4, vcc_lo, 0, v4, vcc_lo
	v_cmp_gt_i32_e32 vcc_lo, 31, v8
	s_wait_alu 0xfffd
	v_cndmask_b32_e32 v9, 0x7c00, v9, vcc_lo
	v_cmp_gt_i32_e32 vcc_lo, 31, v10
	s_wait_alu 0xfffd
	v_cndmask_b32_e32 v4, 0x7c00, v4, vcc_lo
	v_cmp_eq_u32_e32 vcc_lo, 0x40f, v8
	s_wait_alu 0xfffd
	v_cndmask_b32_e32 v2, v9, v2, vcc_lo
	v_cmp_eq_u32_e32 vcc_lo, 0x40f, v10
	s_delay_alu instid0(VALU_DEP_2)
	v_and_or_b32 v2, 0x8000, v5, v2
	s_wait_alu 0xfffd
	v_cndmask_b32_e32 v4, v4, v6, vcc_lo
	v_add_co_u32 v0, vcc_lo, v0, s4
	s_wait_alu 0xfffd
	v_add_co_ci_u32_e32 v1, vcc_lo, s5, v1, vcc_lo
	s_delay_alu instid0(VALU_DEP_3) | instskip(SKIP_1) | instid1(VALU_DEP_1)
	v_and_or_b32 v4, 0x8000, v7, v4
	v_and_b32_e32 v2, 0xffff, v2
	v_lshl_or_b32 v2, v4, 16, v2
	v_lshrrev_b32_e32 v4, 16, v3
	global_store_b32 v[0:1], v2, off
	global_load_b32 v2, v[31:32], off offset:20992
	s_wait_loadcnt 0x0
	v_lshrrev_b32_e32 v5, 16, v2
	s_delay_alu instid0(VALU_DEP_1) | instskip(SKIP_1) | instid1(VALU_DEP_2)
	v_mul_f16_e32 v6, v4, v5
	v_mul_f16_e32 v5, v3, v5
	v_fmac_f16_e32 v6, v3, v2
	s_delay_alu instid0(VALU_DEP_2) | instskip(NEXT) | instid1(VALU_DEP_2)
	v_fma_f16 v2, v2, v4, -v5
	v_cvt_f32_f16_e32 v3, v6
	s_delay_alu instid0(VALU_DEP_2) | instskip(NEXT) | instid1(VALU_DEP_2)
	v_cvt_f32_f16_e32 v4, v2
	v_cvt_f64_f32_e32 v[2:3], v3
	s_delay_alu instid0(VALU_DEP_2) | instskip(NEXT) | instid1(VALU_DEP_2)
	v_cvt_f64_f32_e32 v[4:5], v4
	v_mul_f64_e32 v[2:3], s[10:11], v[2:3]
	s_delay_alu instid0(VALU_DEP_2) | instskip(NEXT) | instid1(VALU_DEP_2)
	v_mul_f64_e32 v[4:5], s[10:11], v[4:5]
	v_and_or_b32 v2, 0x1ff, v3, v2
	s_delay_alu instid0(VALU_DEP_2)
	v_and_or_b32 v4, 0x1ff, v5, v4
	v_lshrrev_b32_e32 v6, 8, v3
	v_bfe_u32 v7, v3, 20, 11
	v_lshrrev_b32_e32 v8, 8, v5
	v_cmp_ne_u32_e32 vcc_lo, 0, v2
	v_bfe_u32 v9, v5, 20, 11
	v_lshrrev_b32_e32 v3, 16, v3
	v_sub_nc_u32_e32 v10, 0x3f1, v7
	v_add_nc_u32_e32 v7, 0xfffffc10, v7
	s_wait_alu 0xfffd
	v_cndmask_b32_e64 v2, 0, 1, vcc_lo
	v_cmp_ne_u32_e32 vcc_lo, 0, v4
	v_lshrrev_b32_e32 v5, 16, v5
	s_delay_alu instid0(VALU_DEP_3) | instskip(SKIP_4) | instid1(VALU_DEP_3)
	v_and_or_b32 v2, 0xffe, v6, v2
	s_wait_alu 0xfffd
	v_cndmask_b32_e64 v4, 0, 1, vcc_lo
	v_sub_nc_u32_e32 v6, 0x3f1, v9
	v_add_nc_u32_e32 v9, 0xfffffc10, v9
	v_and_or_b32 v4, 0xffe, v8, v4
	v_med3_i32 v8, v10, 0, 13
	v_or_b32_e32 v10, 0x1000, v2
	v_med3_i32 v6, v6, 0, 13
	s_delay_alu instid0(VALU_DEP_4) | instskip(NEXT) | instid1(VALU_DEP_3)
	v_or_b32_e32 v11, 0x1000, v4
	v_lshrrev_b32_e32 v12, v8, v10
	s_delay_alu instid0(VALU_DEP_2) | instskip(NEXT) | instid1(VALU_DEP_2)
	v_lshrrev_b32_e32 v13, v6, v11
	v_lshlrev_b32_e32 v8, v8, v12
	s_delay_alu instid0(VALU_DEP_2) | instskip(NEXT) | instid1(VALU_DEP_2)
	v_lshlrev_b32_e32 v6, v6, v13
	v_cmp_ne_u32_e32 vcc_lo, v8, v10
	v_lshl_or_b32 v10, v7, 12, v2
	s_wait_alu 0xfffd
	v_cndmask_b32_e64 v8, 0, 1, vcc_lo
	v_cmp_ne_u32_e32 vcc_lo, v6, v11
	v_lshl_or_b32 v11, v9, 12, v4
	s_delay_alu instid0(VALU_DEP_3) | instskip(SKIP_3) | instid1(VALU_DEP_2)
	v_or_b32_e32 v8, v12, v8
	s_wait_alu 0xfffd
	v_cndmask_b32_e64 v6, 0, 1, vcc_lo
	v_cmp_gt_i32_e32 vcc_lo, 1, v7
	v_or_b32_e32 v6, v13, v6
	s_wait_alu 0xfffd
	v_cndmask_b32_e32 v8, v10, v8, vcc_lo
	v_cmp_gt_i32_e32 vcc_lo, 1, v9
	s_wait_alu 0xfffd
	v_cndmask_b32_e32 v6, v11, v6, vcc_lo
	v_cmp_ne_u32_e32 vcc_lo, 0, v2
	s_delay_alu instid0(VALU_DEP_2)
	v_and_b32_e32 v11, 7, v6
	s_wait_alu 0xfffd
	v_cndmask_b32_e64 v2, 0, 1, vcc_lo
	v_and_b32_e32 v10, 7, v8
	v_cmp_ne_u32_e32 vcc_lo, 0, v4
	v_lshrrev_b32_e32 v8, 2, v8
	v_cmp_lt_i32_e64 s1, 5, v11
	v_cmp_eq_u32_e64 s2, 3, v11
	v_cmp_eq_u32_e64 s0, 3, v10
	s_wait_alu 0xfffd
	v_cndmask_b32_e64 v4, 0, 1, vcc_lo
	v_cmp_lt_i32_e32 vcc_lo, 5, v10
	v_lshrrev_b32_e32 v6, 2, v6
	v_lshl_or_b32 v2, v2, 9, 0x7c00
	s_delay_alu instid0(VALU_DEP_4)
	v_lshl_or_b32 v4, v4, 9, 0x7c00
	s_or_b32 vcc_lo, s0, vcc_lo
	s_wait_alu 0xfffe
	v_add_co_ci_u32_e32 v8, vcc_lo, 0, v8, vcc_lo
	s_or_b32 vcc_lo, s2, s1
	s_wait_alu 0xfffe
	v_add_co_ci_u32_e32 v6, vcc_lo, 0, v6, vcc_lo
	v_cmp_gt_i32_e32 vcc_lo, 31, v7
	s_wait_alu 0xfffd
	v_cndmask_b32_e32 v8, 0x7c00, v8, vcc_lo
	v_cmp_gt_i32_e32 vcc_lo, 31, v9
	s_wait_alu 0xfffd
	v_cndmask_b32_e32 v6, 0x7c00, v6, vcc_lo
	v_cmp_eq_u32_e32 vcc_lo, 0x40f, v7
	s_wait_alu 0xfffd
	v_cndmask_b32_e32 v2, v8, v2, vcc_lo
	v_cmp_eq_u32_e32 vcc_lo, 0x40f, v9
	s_delay_alu instid0(VALU_DEP_2)
	v_and_or_b32 v2, 0x8000, v3, v2
	s_wait_alu 0xfffd
	v_cndmask_b32_e32 v4, v6, v4, vcc_lo
	v_add_co_u32 v0, vcc_lo, v0, s6
	s_wait_alu 0xfffd
	v_add_co_ci_u32_e32 v1, vcc_lo, s7, v1, vcc_lo
	s_delay_alu instid0(VALU_DEP_3) | instskip(SKIP_1) | instid1(VALU_DEP_1)
	v_and_or_b32 v3, 0x8000, v5, v4
	v_and_b32_e32 v2, 0xffff, v2
	v_lshl_or_b32 v2, v3, 16, v2
	global_store_b32 v[0:1], v2, off
	global_load_b32 v4, v[31:32], off offset:31744
	ds_load_2addr_stride64_b32 v[2:3], v73 offset0:124 offset1:166
	s_wait_dscnt 0x0
	v_lshrrev_b32_e32 v5, 16, v2
	s_wait_loadcnt 0x0
	v_lshrrev_b32_e32 v6, 16, v4
	s_delay_alu instid0(VALU_DEP_1) | instskip(SKIP_1) | instid1(VALU_DEP_2)
	v_mul_f16_e32 v7, v5, v6
	v_mul_f16_e32 v6, v2, v6
	v_fmac_f16_e32 v7, v2, v4
	s_delay_alu instid0(VALU_DEP_2) | instskip(NEXT) | instid1(VALU_DEP_2)
	v_fma_f16 v2, v4, v5, -v6
	v_cvt_f32_f16_e32 v4, v7
	s_delay_alu instid0(VALU_DEP_2) | instskip(NEXT) | instid1(VALU_DEP_2)
	v_cvt_f32_f16_e32 v2, v2
	v_cvt_f64_f32_e32 v[4:5], v4
	s_delay_alu instid0(VALU_DEP_2) | instskip(NEXT) | instid1(VALU_DEP_2)
	v_cvt_f64_f32_e32 v[6:7], v2
	v_mul_f64_e32 v[4:5], s[10:11], v[4:5]
	s_delay_alu instid0(VALU_DEP_2) | instskip(NEXT) | instid1(VALU_DEP_2)
	v_mul_f64_e32 v[6:7], s[10:11], v[6:7]
	v_and_or_b32 v2, 0x1ff, v5, v4
	s_delay_alu instid0(VALU_DEP_2)
	v_and_or_b32 v6, 0x1ff, v7, v6
	v_lshrrev_b32_e32 v4, 8, v5
	v_bfe_u32 v8, v5, 20, 11
	v_lshrrev_b32_e32 v9, 8, v7
	v_cmp_ne_u32_e32 vcc_lo, 0, v2
	v_bfe_u32 v10, v7, 20, 11
	v_lshrrev_b32_e32 v5, 16, v5
	v_sub_nc_u32_e32 v11, 0x3f1, v8
	v_add_nc_u32_e32 v8, 0xfffffc10, v8
	s_wait_alu 0xfffd
	v_cndmask_b32_e64 v2, 0, 1, vcc_lo
	v_cmp_ne_u32_e32 vcc_lo, 0, v6
	v_lshrrev_b32_e32 v7, 16, v7
	s_delay_alu instid0(VALU_DEP_3) | instskip(SKIP_4) | instid1(VALU_DEP_3)
	v_and_or_b32 v2, 0xffe, v4, v2
	s_wait_alu 0xfffd
	v_cndmask_b32_e64 v6, 0, 1, vcc_lo
	v_sub_nc_u32_e32 v4, 0x3f1, v10
	v_add_nc_u32_e32 v10, 0xfffffc10, v10
	v_and_or_b32 v6, 0xffe, v9, v6
	v_med3_i32 v9, v11, 0, 13
	v_or_b32_e32 v11, 0x1000, v2
	v_med3_i32 v4, v4, 0, 13
	s_delay_alu instid0(VALU_DEP_4) | instskip(NEXT) | instid1(VALU_DEP_3)
	v_or_b32_e32 v12, 0x1000, v6
	v_lshrrev_b32_e32 v13, v9, v11
	s_delay_alu instid0(VALU_DEP_2) | instskip(NEXT) | instid1(VALU_DEP_2)
	v_lshrrev_b32_e32 v14, v4, v12
	v_lshlrev_b32_e32 v9, v9, v13
	s_delay_alu instid0(VALU_DEP_2) | instskip(NEXT) | instid1(VALU_DEP_2)
	v_lshlrev_b32_e32 v4, v4, v14
	v_cmp_ne_u32_e32 vcc_lo, v9, v11
	v_lshl_or_b32 v11, v8, 12, v2
	s_wait_alu 0xfffd
	v_cndmask_b32_e64 v9, 0, 1, vcc_lo
	v_cmp_ne_u32_e32 vcc_lo, v4, v12
	v_lshl_or_b32 v12, v10, 12, v6
	s_delay_alu instid0(VALU_DEP_3) | instskip(SKIP_3) | instid1(VALU_DEP_2)
	v_or_b32_e32 v9, v13, v9
	s_wait_alu 0xfffd
	v_cndmask_b32_e64 v4, 0, 1, vcc_lo
	v_cmp_gt_i32_e32 vcc_lo, 1, v8
	v_or_b32_e32 v4, v14, v4
	s_wait_alu 0xfffd
	v_cndmask_b32_e32 v9, v11, v9, vcc_lo
	v_cmp_gt_i32_e32 vcc_lo, 1, v10
	s_wait_alu 0xfffd
	s_delay_alu instid0(VALU_DEP_2) | instskip(SKIP_2) | instid1(VALU_DEP_3)
	v_dual_cndmask_b32 v4, v12, v4 :: v_dual_and_b32 v11, 7, v9
	v_cmp_ne_u32_e32 vcc_lo, 0, v2
	v_lshrrev_b32_e32 v9, 2, v9
	v_cmp_eq_u32_e64 s0, 3, v11
	s_delay_alu instid0(VALU_DEP_4)
	v_and_b32_e32 v12, 7, v4
	s_wait_alu 0xfffd
	v_cndmask_b32_e64 v2, 0, 1, vcc_lo
	v_cmp_ne_u32_e32 vcc_lo, 0, v6
	v_lshrrev_b32_e32 v4, 2, v4
	v_cmp_lt_i32_e64 s1, 5, v12
	v_cmp_eq_u32_e64 s2, 3, v12
	s_wait_alu 0xfffd
	v_cndmask_b32_e64 v6, 0, 1, vcc_lo
	v_cmp_lt_i32_e32 vcc_lo, 5, v11
	v_lshl_or_b32 v2, v2, 9, 0x7c00
	s_delay_alu instid0(VALU_DEP_3)
	v_lshl_or_b32 v6, v6, 9, 0x7c00
	s_or_b32 vcc_lo, s0, vcc_lo
	s_wait_alu 0xfffe
	v_add_co_ci_u32_e32 v9, vcc_lo, 0, v9, vcc_lo
	s_or_b32 vcc_lo, s2, s1
	s_wait_alu 0xfffe
	v_add_co_ci_u32_e32 v4, vcc_lo, 0, v4, vcc_lo
	v_cmp_gt_i32_e32 vcc_lo, 31, v8
	s_wait_alu 0xfffd
	v_cndmask_b32_e32 v9, 0x7c00, v9, vcc_lo
	v_cmp_gt_i32_e32 vcc_lo, 31, v10
	s_wait_alu 0xfffd
	v_cndmask_b32_e32 v4, 0x7c00, v4, vcc_lo
	v_cmp_eq_u32_e32 vcc_lo, 0x40f, v8
	s_wait_alu 0xfffd
	v_cndmask_b32_e32 v2, v9, v2, vcc_lo
	v_cmp_eq_u32_e32 vcc_lo, 0x40f, v10
	s_delay_alu instid0(VALU_DEP_2)
	v_and_or_b32 v2, 0x8000, v5, v2
	s_wait_alu 0xfffd
	v_cndmask_b32_e32 v4, v4, v6, vcc_lo
	v_add_co_u32 v0, vcc_lo, v0, s6
	s_wait_alu 0xfffd
	v_add_co_ci_u32_e32 v1, vcc_lo, s7, v1, vcc_lo
	s_delay_alu instid0(VALU_DEP_3) | instskip(SKIP_1) | instid1(VALU_DEP_1)
	v_and_or_b32 v4, 0x8000, v7, v4
	v_and_b32_e32 v2, 0xffff, v2
	v_lshl_or_b32 v2, v4, 16, v2
	v_lshrrev_b32_e32 v4, 16, v3
	global_store_b32 v[0:1], v2, off
	global_load_b32 v2, v[31:32], off offset:42496
	s_wait_loadcnt 0x0
	v_lshrrev_b32_e32 v5, 16, v2
	s_delay_alu instid0(VALU_DEP_1) | instskip(SKIP_1) | instid1(VALU_DEP_2)
	v_mul_f16_e32 v6, v4, v5
	v_mul_f16_e32 v5, v3, v5
	v_fmac_f16_e32 v6, v3, v2
	s_delay_alu instid0(VALU_DEP_2) | instskip(NEXT) | instid1(VALU_DEP_2)
	v_fma_f16 v2, v2, v4, -v5
	v_cvt_f32_f16_e32 v3, v6
	s_delay_alu instid0(VALU_DEP_2) | instskip(NEXT) | instid1(VALU_DEP_2)
	v_cvt_f32_f16_e32 v4, v2
	v_cvt_f64_f32_e32 v[2:3], v3
	s_delay_alu instid0(VALU_DEP_2) | instskip(NEXT) | instid1(VALU_DEP_2)
	v_cvt_f64_f32_e32 v[4:5], v4
	v_mul_f64_e32 v[2:3], s[10:11], v[2:3]
	s_delay_alu instid0(VALU_DEP_2) | instskip(NEXT) | instid1(VALU_DEP_2)
	v_mul_f64_e32 v[4:5], s[10:11], v[4:5]
	v_and_or_b32 v2, 0x1ff, v3, v2
	s_delay_alu instid0(VALU_DEP_2)
	v_and_or_b32 v4, 0x1ff, v5, v4
	v_lshrrev_b32_e32 v6, 8, v3
	v_bfe_u32 v7, v3, 20, 11
	v_lshrrev_b32_e32 v8, 8, v5
	v_cmp_ne_u32_e32 vcc_lo, 0, v2
	v_bfe_u32 v9, v5, 20, 11
	v_lshrrev_b32_e32 v3, 16, v3
	v_sub_nc_u32_e32 v10, 0x3f1, v7
	v_add_nc_u32_e32 v7, 0xfffffc10, v7
	s_wait_alu 0xfffd
	v_cndmask_b32_e64 v2, 0, 1, vcc_lo
	v_cmp_ne_u32_e32 vcc_lo, 0, v4
	v_lshrrev_b32_e32 v5, 16, v5
	s_delay_alu instid0(VALU_DEP_3) | instskip(SKIP_4) | instid1(VALU_DEP_3)
	v_and_or_b32 v2, 0xffe, v6, v2
	s_wait_alu 0xfffd
	v_cndmask_b32_e64 v4, 0, 1, vcc_lo
	v_sub_nc_u32_e32 v6, 0x3f1, v9
	v_add_nc_u32_e32 v9, 0xfffffc10, v9
	v_and_or_b32 v4, 0xffe, v8, v4
	v_med3_i32 v8, v10, 0, 13
	v_or_b32_e32 v10, 0x1000, v2
	v_med3_i32 v6, v6, 0, 13
	s_delay_alu instid0(VALU_DEP_4) | instskip(NEXT) | instid1(VALU_DEP_3)
	v_or_b32_e32 v11, 0x1000, v4
	v_lshrrev_b32_e32 v12, v8, v10
	s_delay_alu instid0(VALU_DEP_2) | instskip(NEXT) | instid1(VALU_DEP_2)
	v_lshrrev_b32_e32 v13, v6, v11
	v_lshlrev_b32_e32 v8, v8, v12
	s_delay_alu instid0(VALU_DEP_2) | instskip(NEXT) | instid1(VALU_DEP_2)
	v_lshlrev_b32_e32 v6, v6, v13
	v_cmp_ne_u32_e32 vcc_lo, v8, v10
	v_lshl_or_b32 v10, v7, 12, v2
	s_wait_alu 0xfffd
	v_cndmask_b32_e64 v8, 0, 1, vcc_lo
	v_cmp_ne_u32_e32 vcc_lo, v6, v11
	v_lshl_or_b32 v11, v9, 12, v4
	s_delay_alu instid0(VALU_DEP_3) | instskip(SKIP_3) | instid1(VALU_DEP_2)
	v_or_b32_e32 v8, v12, v8
	s_wait_alu 0xfffd
	v_cndmask_b32_e64 v6, 0, 1, vcc_lo
	v_cmp_gt_i32_e32 vcc_lo, 1, v7
	v_or_b32_e32 v6, v13, v6
	s_wait_alu 0xfffd
	v_cndmask_b32_e32 v8, v10, v8, vcc_lo
	v_cmp_gt_i32_e32 vcc_lo, 1, v9
	s_delay_alu instid0(VALU_DEP_2)
	v_and_b32_e32 v10, 7, v8
	s_wait_alu 0xfffd
	v_cndmask_b32_e32 v6, v11, v6, vcc_lo
	v_cmp_ne_u32_e32 vcc_lo, 0, v2
	v_lshrrev_b32_e32 v8, 2, v8
	v_cmp_eq_u32_e64 s0, 3, v10
	s_delay_alu instid0(VALU_DEP_4)
	v_and_b32_e32 v11, 7, v6
	s_wait_alu 0xfffd
	v_cndmask_b32_e64 v2, 0, 1, vcc_lo
	v_cmp_ne_u32_e32 vcc_lo, 0, v4
	v_lshrrev_b32_e32 v6, 2, v6
	v_cmp_lt_i32_e64 s1, 5, v11
	v_cmp_eq_u32_e64 s2, 3, v11
	s_wait_alu 0xfffd
	v_cndmask_b32_e64 v4, 0, 1, vcc_lo
	v_cmp_lt_i32_e32 vcc_lo, 5, v10
	v_lshl_or_b32 v2, v2, 9, 0x7c00
	s_delay_alu instid0(VALU_DEP_3)
	v_lshl_or_b32 v4, v4, 9, 0x7c00
	s_or_b32 vcc_lo, s0, vcc_lo
	s_wait_alu 0xfffe
	v_add_co_ci_u32_e32 v8, vcc_lo, 0, v8, vcc_lo
	s_or_b32 vcc_lo, s2, s1
	s_wait_alu 0xfffe
	v_add_co_ci_u32_e32 v6, vcc_lo, 0, v6, vcc_lo
	v_cmp_gt_i32_e32 vcc_lo, 31, v7
	s_wait_alu 0xfffd
	v_cndmask_b32_e32 v8, 0x7c00, v8, vcc_lo
	v_cmp_gt_i32_e32 vcc_lo, 31, v9
	s_wait_alu 0xfffd
	v_cndmask_b32_e32 v6, 0x7c00, v6, vcc_lo
	v_cmp_eq_u32_e32 vcc_lo, 0x40f, v7
	s_wait_alu 0xfffd
	v_cndmask_b32_e32 v2, v8, v2, vcc_lo
	v_cmp_eq_u32_e32 vcc_lo, 0x40f, v9
	s_delay_alu instid0(VALU_DEP_2)
	v_and_or_b32 v2, 0x8000, v3, v2
	s_wait_alu 0xfffd
	v_cndmask_b32_e32 v4, v6, v4, vcc_lo
	v_add_co_u32 v0, vcc_lo, v0, s6
	s_wait_alu 0xfffd
	v_add_co_ci_u32_e32 v1, vcc_lo, s7, v1, vcc_lo
	s_delay_alu instid0(VALU_DEP_3) | instskip(SKIP_1) | instid1(VALU_DEP_1)
	v_and_or_b32 v3, 0x8000, v5, v4
	v_and_b32_e32 v2, 0xffff, v2
	v_lshl_or_b32 v2, v3, 16, v2
	global_store_b32 v[0:1], v2, off
.LBB0_33:
	s_nop 0
	s_sendmsg sendmsg(MSG_DEALLOC_VGPRS)
	s_endpgm
	.section	.rodata,"a",@progbits
	.p2align	6, 0x0
	.amdhsa_kernel bluestein_single_fwd_len10752_dim1_half_op_CI_CI
		.amdhsa_group_segment_fixed_size 43008
		.amdhsa_private_segment_fixed_size 0
		.amdhsa_kernarg_size 104
		.amdhsa_user_sgpr_count 2
		.amdhsa_user_sgpr_dispatch_ptr 0
		.amdhsa_user_sgpr_queue_ptr 0
		.amdhsa_user_sgpr_kernarg_segment_ptr 1
		.amdhsa_user_sgpr_dispatch_id 0
		.amdhsa_user_sgpr_private_segment_size 0
		.amdhsa_wavefront_size32 1
		.amdhsa_uses_dynamic_stack 0
		.amdhsa_enable_private_segment 0
		.amdhsa_system_sgpr_workgroup_id_x 1
		.amdhsa_system_sgpr_workgroup_id_y 0
		.amdhsa_system_sgpr_workgroup_id_z 0
		.amdhsa_system_sgpr_workgroup_info 0
		.amdhsa_system_vgpr_workitem_id 0
		.amdhsa_next_free_vgpr 213
		.amdhsa_next_free_sgpr 16
		.amdhsa_reserve_vcc 1
		.amdhsa_float_round_mode_32 0
		.amdhsa_float_round_mode_16_64 0
		.amdhsa_float_denorm_mode_32 3
		.amdhsa_float_denorm_mode_16_64 3
		.amdhsa_fp16_overflow 0
		.amdhsa_workgroup_processor_mode 1
		.amdhsa_memory_ordered 1
		.amdhsa_forward_progress 0
		.amdhsa_round_robin_scheduling 0
		.amdhsa_exception_fp_ieee_invalid_op 0
		.amdhsa_exception_fp_denorm_src 0
		.amdhsa_exception_fp_ieee_div_zero 0
		.amdhsa_exception_fp_ieee_overflow 0
		.amdhsa_exception_fp_ieee_underflow 0
		.amdhsa_exception_fp_ieee_inexact 0
		.amdhsa_exception_int_div_zero 0
	.end_amdhsa_kernel
	.text
.Lfunc_end0:
	.size	bluestein_single_fwd_len10752_dim1_half_op_CI_CI, .Lfunc_end0-bluestein_single_fwd_len10752_dim1_half_op_CI_CI
                                        ; -- End function
	.section	.AMDGPU.csdata,"",@progbits
; Kernel info:
; codeLenInByte = 45436
; NumSgprs: 18
; NumVgprs: 213
; ScratchSize: 0
; MemoryBound: 0
; FloatMode: 240
; IeeeMode: 1
; LDSByteSize: 43008 bytes/workgroup (compile time only)
; SGPRBlocks: 2
; VGPRBlocks: 26
; NumSGPRsForWavesPerEU: 18
; NumVGPRsForWavesPerEU: 213
; Occupancy: 7
; WaveLimiterHint : 1
; COMPUTE_PGM_RSRC2:SCRATCH_EN: 0
; COMPUTE_PGM_RSRC2:USER_SGPR: 2
; COMPUTE_PGM_RSRC2:TRAP_HANDLER: 0
; COMPUTE_PGM_RSRC2:TGID_X_EN: 1
; COMPUTE_PGM_RSRC2:TGID_Y_EN: 0
; COMPUTE_PGM_RSRC2:TGID_Z_EN: 0
; COMPUTE_PGM_RSRC2:TIDIG_COMP_CNT: 0
	.text
	.p2alignl 7, 3214868480
	.fill 96, 4, 3214868480
	.type	__hip_cuid_4f634362d76ffc8d,@object ; @__hip_cuid_4f634362d76ffc8d
	.section	.bss,"aw",@nobits
	.globl	__hip_cuid_4f634362d76ffc8d
__hip_cuid_4f634362d76ffc8d:
	.byte	0                               ; 0x0
	.size	__hip_cuid_4f634362d76ffc8d, 1

	.ident	"AMD clang version 19.0.0git (https://github.com/RadeonOpenCompute/llvm-project roc-6.4.0 25133 c7fe45cf4b819c5991fe208aaa96edf142730f1d)"
	.section	".note.GNU-stack","",@progbits
	.addrsig
	.addrsig_sym __hip_cuid_4f634362d76ffc8d
	.amdgpu_metadata
---
amdhsa.kernels:
  - .args:
      - .actual_access:  read_only
        .address_space:  global
        .offset:         0
        .size:           8
        .value_kind:     global_buffer
      - .actual_access:  read_only
        .address_space:  global
        .offset:         8
        .size:           8
        .value_kind:     global_buffer
      - .actual_access:  read_only
        .address_space:  global
        .offset:         16
        .size:           8
        .value_kind:     global_buffer
      - .actual_access:  read_only
        .address_space:  global
        .offset:         24
        .size:           8
        .value_kind:     global_buffer
      - .actual_access:  read_only
        .address_space:  global
        .offset:         32
        .size:           8
        .value_kind:     global_buffer
      - .offset:         40
        .size:           8
        .value_kind:     by_value
      - .address_space:  global
        .offset:         48
        .size:           8
        .value_kind:     global_buffer
      - .address_space:  global
        .offset:         56
        .size:           8
        .value_kind:     global_buffer
      - .address_space:  global
        .offset:         64
        .size:           8
        .value_kind:     global_buffer
      - .address_space:  global
        .offset:         72
        .size:           8
        .value_kind:     global_buffer
      - .offset:         80
        .size:           4
        .value_kind:     by_value
      - .address_space:  global
        .offset:         88
        .size:           8
        .value_kind:     global_buffer
      - .address_space:  global
        .offset:         96
        .size:           8
        .value_kind:     global_buffer
    .group_segment_fixed_size: 43008
    .kernarg_segment_align: 8
    .kernarg_segment_size: 104
    .language:       OpenCL C
    .language_version:
      - 2
      - 0
    .max_flat_workgroup_size: 512
    .name:           bluestein_single_fwd_len10752_dim1_half_op_CI_CI
    .private_segment_fixed_size: 0
    .sgpr_count:     18
    .sgpr_spill_count: 0
    .symbol:         bluestein_single_fwd_len10752_dim1_half_op_CI_CI.kd
    .uniform_work_group_size: 1
    .uses_dynamic_stack: false
    .vgpr_count:     213
    .vgpr_spill_count: 0
    .wavefront_size: 32
    .workgroup_processor_mode: 1
amdhsa.target:   amdgcn-amd-amdhsa--gfx1201
amdhsa.version:
  - 1
  - 2
...

	.end_amdgpu_metadata
